;; amdgpu-corpus repo=ROCm/rocFFT kind=compiled arch=gfx1030 opt=O3
	.text
	.amdgcn_target "amdgcn-amd-amdhsa--gfx1030"
	.amdhsa_code_object_version 6
	.protected	bluestein_single_back_len286_dim1_sp_op_CI_CI ; -- Begin function bluestein_single_back_len286_dim1_sp_op_CI_CI
	.globl	bluestein_single_back_len286_dim1_sp_op_CI_CI
	.p2align	8
	.type	bluestein_single_back_len286_dim1_sp_op_CI_CI,@function
bluestein_single_back_len286_dim1_sp_op_CI_CI: ; @bluestein_single_back_len286_dim1_sp_op_CI_CI
; %bb.0:
	s_load_dwordx4 s[0:3], s[4:5], 0x28
	v_mul_u32_u24_e32 v1, 0x9d9, v0
	v_mov_b32_e32 v57, 0
	v_lshrrev_b32_e32 v1, 16, v1
	v_lshl_add_u32 v56, s6, 1, v1
	s_waitcnt lgkmcnt(0)
	v_cmp_gt_u64_e32 vcc_lo, s[0:1], v[56:57]
	s_and_saveexec_b32 s0, vcc_lo
	s_cbranch_execz .LBB0_23
; %bb.1:
	v_mul_lo_u16 v2, v1, 26
	s_clause 0x1
	s_load_dwordx2 s[14:15], s[4:5], 0x0
	s_load_dwordx2 s[12:13], s[4:5], 0x38
	v_and_b32_e32 v1, 1, v1
	v_sub_nc_u16 v0, v0, v2
	v_cmp_eq_u32_e32 vcc_lo, 1, v1
	v_and_b32_e32 v73, 0xffff, v0
	v_cndmask_b32_e64 v71, 0, 0x11e, vcc_lo
	v_cmp_gt_u16_e32 vcc_lo, 22, v0
	v_lshlrev_b32_e32 v72, 3, v73
	v_lshlrev_b32_e32 v74, 3, v71
	s_and_saveexec_b32 s1, vcc_lo
	s_cbranch_execz .LBB0_3
; %bb.2:
	s_load_dwordx2 s[6:7], s[4:5], 0x18
	s_waitcnt lgkmcnt(0)
	v_add_co_u32 v28, s0, s14, v72
	v_add_co_ci_u32_e64 v29, null, s15, 0, s0
	v_lshl_add_u32 v57, v73, 3, v74
	v_add_nc_u32_e32 v58, v74, v72
	s_load_dwordx4 s[8:11], s[6:7], 0x0
	s_waitcnt lgkmcnt(0)
	v_mad_u64_u32 v[0:1], null, s10, v56, 0
	v_mad_u64_u32 v[2:3], null, s8, v73, 0
	s_mul_i32 s6, s9, 0xb0
	s_mul_hi_u32 s7, s8, 0xb0
	s_add_i32 s7, s7, s6
	v_mad_u64_u32 v[4:5], null, s11, v56, v[1:2]
	v_mad_u64_u32 v[5:6], null, s9, v73, v[3:4]
	v_mov_b32_e32 v1, v4
	s_clause 0x2
	global_load_dwordx2 v[6:7], v72, s[14:15]
	global_load_dwordx2 v[8:9], v72, s[14:15] offset:176
	global_load_dwordx2 v[10:11], v72, s[14:15] offset:352
	v_lshlrev_b64 v[0:1], 3, v[0:1]
	v_mov_b32_e32 v3, v5
	s_clause 0x7
	global_load_dwordx2 v[4:5], v72, s[14:15] offset:528
	global_load_dwordx2 v[12:13], v72, s[14:15] offset:704
	;; [unrolled: 1-line block ×8, first 2 shown]
	v_lshlrev_b64 v[2:3], 3, v[2:3]
	v_add_co_u32 v0, s0, s2, v0
	v_add_co_ci_u32_e64 v1, s0, s3, v1, s0
	s_mul_i32 s2, s8, 0xb0
	v_add_co_u32 v0, s0, v0, v2
	v_add_co_ci_u32_e64 v1, s0, v1, v3, s0
	v_add_co_u32 v2, s0, v0, s2
	v_add_co_ci_u32_e64 v3, s0, s7, v1, s0
	global_load_dwordx2 v[0:1], v[0:1], off
	v_add_co_u32 v26, s0, v2, s2
	v_add_co_ci_u32_e64 v27, s0, s7, v3, s0
	v_add_co_u32 v28, s0, 0x800, v28
	v_add_co_ci_u32_e64 v29, s0, 0, v29, s0
	;; [unrolled: 2-line block ×4, first 2 shown]
	s_clause 0x2
	global_load_dwordx2 v[2:3], v[2:3], off
	global_load_dwordx2 v[26:27], v[26:27], off
	;; [unrolled: 1-line block ×3, first 2 shown]
	v_add_co_u32 v34, s0, v32, s2
	v_add_co_ci_u32_e64 v35, s0, s7, v33, s0
	global_load_dwordx2 v[32:33], v[32:33], off
	v_add_co_u32 v36, s0, v34, s2
	v_add_co_ci_u32_e64 v37, s0, s7, v35, s0
	global_load_dwordx2 v[34:35], v[34:35], off
	;; [unrolled: 3-line block ×7, first 2 shown]
	v_add_co_u32 v48, s0, v46, s2
	v_add_co_ci_u32_e64 v49, s0, s7, v47, s0
	global_load_dwordx2 v[50:51], v72, s[14:15] offset:1936
	global_load_dwordx2 v[46:47], v[46:47], off
	global_load_dwordx2 v[28:29], v[28:29], off offset:64
	global_load_dwordx2 v[48:49], v[48:49], off
	s_waitcnt vmcnt(14)
	v_mul_f32_e32 v53, v0, v7
	v_mul_f32_e32 v52, v1, v7
	v_fma_f32 v53, v1, v6, -v53
	v_fmac_f32_e32 v52, v0, v6
	ds_write_b64 v57, v[52:53]
	s_waitcnt vmcnt(13)
	v_mul_f32_e32 v7, v2, v9
	v_mul_f32_e32 v54, v3, v9
	s_waitcnt vmcnt(12)
	v_mul_f32_e32 v1, v27, v11
	v_mul_f32_e32 v9, v26, v11
	s_waitcnt vmcnt(11)
	v_mul_f32_e32 v0, v31, v5
	v_fma_f32 v55, v3, v8, -v7
	v_fmac_f32_e32 v54, v2, v8
	v_fmac_f32_e32 v1, v26, v10
	v_fma_f32 v2, v27, v10, -v9
	v_mul_f32_e32 v3, v30, v5
	s_waitcnt vmcnt(10)
	v_mul_f32_e32 v6, v32, v13
	v_fmac_f32_e32 v0, v30, v4
	s_waitcnt vmcnt(9)
	v_mul_f32_e32 v5, v35, v15
	ds_write2_b64 v58, v[54:55], v[1:2] offset0:22 offset1:44
	v_fma_f32 v1, v31, v4, -v3
	v_mul_f32_e32 v4, v34, v15
	v_fma_f32 v3, v33, v12, -v6
	v_mul_f32_e32 v2, v33, v13
	s_waitcnt vmcnt(8)
	v_mul_f32_e32 v7, v37, v17
	v_mul_f32_e32 v8, v36, v17
	v_fma_f32 v6, v35, v14, -v4
	v_fmac_f32_e32 v5, v34, v14
	s_waitcnt vmcnt(7)
	v_mul_f32_e32 v4, v38, v19
	v_mul_f32_e32 v9, v39, v19
	v_fmac_f32_e32 v2, v32, v12
	v_fmac_f32_e32 v7, v36, v16
	v_fma_f32 v8, v37, v16, -v8
	v_fma_f32 v10, v39, v18, -v4
	s_waitcnt vmcnt(6)
	v_mul_f32_e32 v4, v40, v21
	v_mul_f32_e32 v11, v41, v21
	v_fmac_f32_e32 v9, v38, v18
	s_waitcnt vmcnt(5)
	v_mul_f32_e32 v13, v43, v23
	v_mul_f32_e32 v14, v42, v23
	v_fma_f32 v12, v41, v20, -v4
	v_fmac_f32_e32 v11, v40, v20
	s_waitcnt vmcnt(4)
	v_mul_f32_e32 v15, v45, v25
	v_mul_f32_e32 v4, v44, v25
	v_fmac_f32_e32 v13, v42, v22
	s_waitcnt vmcnt(2)
	v_mul_f32_e32 v17, v47, v51
	v_mul_f32_e32 v18, v46, v51
	s_waitcnt vmcnt(0)
	v_mul_f32_e32 v19, v49, v29
	v_mul_f32_e32 v20, v48, v29
	v_fma_f32 v14, v43, v22, -v14
	v_fmac_f32_e32 v15, v44, v24
	v_fma_f32 v16, v45, v24, -v4
	v_fmac_f32_e32 v17, v46, v50
	;; [unrolled: 2-line block ×3, first 2 shown]
	v_fma_f32 v20, v49, v28, -v20
	v_add_nc_u32_e32 v4, 0x400, v58
	ds_write2_b64 v58, v[0:1], v[2:3] offset0:66 offset1:88
	ds_write2_b64 v58, v[5:6], v[7:8] offset0:110 offset1:132
	ds_write2_b64 v58, v[9:10], v[11:12] offset0:154 offset1:176
	ds_write2_b64 v58, v[13:14], v[15:16] offset0:198 offset1:220
	ds_write2_b64 v4, v[17:18], v[19:20] offset0:114 offset1:136
.LBB0_3:
	s_or_b32 exec_lo, exec_lo, s1
	s_clause 0x1
	s_load_dwordx2 s[6:7], s[4:5], 0x20
	s_load_dwordx2 s[2:3], s[4:5], 0x8
	v_mov_b32_e32 v0, 0
	v_mov_b32_e32 v1, 0
	s_waitcnt lgkmcnt(0)
	s_barrier
	buffer_gl0_inv
                                        ; implicit-def: $vgpr14
                                        ; implicit-def: $vgpr10
                                        ; implicit-def: $vgpr6
                                        ; implicit-def: $vgpr20
                                        ; implicit-def: $vgpr18
                                        ; implicit-def: $vgpr26
	s_and_saveexec_b32 s0, vcc_lo
	s_cbranch_execz .LBB0_5
; %bb.4:
	v_lshl_add_u32 v20, v71, 3, v72
	ds_read2_b64 v[0:3], v20 offset1:22
	ds_read2_b64 v[24:27], v20 offset0:44 offset1:66
	ds_read2_b64 v[16:19], v20 offset0:88 offset1:110
	;; [unrolled: 1-line block ×5, first 2 shown]
	ds_read_b64 v[20:21], v20 offset:2112
.LBB0_5:
	s_or_b32 exec_lo, exec_lo, s0
	s_waitcnt lgkmcnt(0)
	v_sub_f32_e32 v59, v3, v21
	v_sub_f32_e32 v51, v2, v20
	v_add_f32_e32 v28, v20, v2
	v_sub_f32_e32 v61, v25, v7
	v_add_f32_e32 v30, v21, v3
	v_mul_f32_e32 v38, 0xbeedf032, v59
	v_mul_f32_e32 v42, 0xbeedf032, v51
	v_add_f32_e32 v29, v6, v24
	v_sub_f32_e32 v52, v24, v6
	v_mul_f32_e32 v40, 0xbf52af12, v61
	v_fmamk_f32 v22, v28, 0x3f62ad3f, v38
	v_fma_f32 v23, 0x3f62ad3f, v30, -v42
	v_add_f32_e32 v31, v7, v25
	v_mul_f32_e32 v45, 0xbf52af12, v52
	v_fmamk_f32 v33, v29, 0x3f116cb1, v40
	v_add_f32_e32 v22, v22, v0
	v_sub_f32_e32 v53, v26, v4
	v_add_f32_e32 v23, v23, v1
	v_fma_f32 v34, 0x3f116cb1, v31, -v45
	v_sub_f32_e32 v54, v16, v10
	v_add_f32_e32 v22, v33, v22
	v_add_f32_e32 v33, v5, v27
	v_mul_f32_e32 v47, 0xbf7e222b, v53
	v_add_f32_e32 v23, v34, v23
	v_add_f32_e32 v35, v11, v17
	v_mul_f32_e32 v48, 0xbf6f5d39, v54
	v_sub_f32_e32 v60, v18, v8
	v_fma_f32 v37, 0x3df6dbef, v33, -v47
	v_sub_f32_e32 v67, v27, v5
	v_mul_f32_e32 v65, 0xbf52af12, v59
	v_fma_f32 v43, 0xbeb58ec6, v35, -v48
	v_mul_f32_e32 v49, 0xbf29c268, v60
	v_add_f32_e32 v23, v37, v23
	v_add_f32_e32 v37, v9, v19
	v_mul_f32_e32 v79, 0xbf52af12, v51
	v_add_f32_e32 v32, v4, v26
	v_mul_f32_e32 v41, 0xbf7e222b, v67
	v_add_f32_e32 v23, v43, v23
	v_fma_f32 v43, 0xbf3f9e67, v37, -v49
	v_sub_f32_e32 v76, v17, v11
	v_mul_f32_e32 v68, 0xbf6f5d39, v61
	v_fma_f32 v55, 0x3f116cb1, v30, -v79
	v_mul_f32_e32 v80, 0xbf6f5d39, v52
	v_add_f32_e32 v23, v43, v23
	v_fmamk_f32 v43, v28, 0x3f116cb1, v65
	v_fmamk_f32 v36, v32, 0x3df6dbef, v41
	v_add_f32_e32 v34, v10, v16
	v_mul_f32_e32 v44, 0xbf6f5d39, v76
	v_sub_f32_e32 v82, v19, v9
	v_add_f32_e32 v43, v43, v0
	v_fmamk_f32 v58, v29, 0xbeb58ec6, v68
	v_add_f32_e32 v55, v55, v1
	v_fma_f32 v62, 0xbeb58ec6, v31, -v80
	v_mul_f32_e32 v69, 0xbe750f2a, v67
	v_mul_f32_e32 v77, 0xbe750f2a, v53
	v_add_f32_e32 v22, v36, v22
	v_fmamk_f32 v39, v34, 0xbeb58ec6, v44
	v_add_f32_e32 v36, v8, v18
	v_mul_f32_e32 v46, 0xbf29c268, v82
	v_add_f32_e32 v58, v58, v43
	v_add_f32_e32 v55, v62, v55
	v_fmamk_f32 v63, v32, 0xbf788fa5, v69
	v_fma_f32 v64, 0xbf788fa5, v33, -v77
	v_mul_f32_e32 v62, 0x3f29c268, v76
	v_mul_f32_e32 v78, 0x3f29c268, v54
	v_add_f32_e32 v22, v39, v22
	v_fmamk_f32 v39, v36, 0xbf3f9e67, v46
	v_sub_f32_e32 v81, v13, v15
	v_sub_f32_e32 v83, v12, v14
	v_add_f32_e32 v58, v63, v58
	v_add_f32_e32 v64, v64, v55
	v_fmamk_f32 v66, v34, 0xbf3f9e67, v62
	v_fma_f32 v75, 0xbf3f9e67, v35, -v78
	v_mul_f32_e32 v63, 0x3f7e222b, v82
	v_mul_f32_e32 v70, 0x3f7e222b, v60
	v_add_f32_e32 v22, v39, v22
	v_add_f32_e32 v39, v14, v12
	v_mul_f32_e32 v50, 0xbe750f2a, v81
	v_add_f32_e32 v43, v15, v13
	v_mul_f32_e32 v55, 0xbe750f2a, v83
	v_add_f32_e32 v58, v66, v58
	v_add_f32_e32 v75, v75, v64
	v_fmamk_f32 v84, v36, 0x3df6dbef, v63
	v_fma_f32 v85, 0x3df6dbef, v37, -v70
	v_mul_f32_e32 v64, 0x3eedf032, v81
	v_mul_f32_e32 v66, 0x3eedf032, v83
	v_fmamk_f32 v57, v39, 0xbf788fa5, v50
	v_fma_f32 v86, 0xbf788fa5, v43, -v55
	v_add_f32_e32 v84, v84, v58
	v_add_f32_e32 v75, v85, v75
	v_fmamk_f32 v85, v39, 0x3f62ad3f, v64
	v_fma_f32 v87, 0x3f62ad3f, v43, -v66
	v_add_f32_e32 v57, v57, v22
	v_add_f32_e32 v58, v86, v23
	;; [unrolled: 1-line block ×4, first 2 shown]
	v_mul_lo_u16 v75, v73, 13
	s_barrier
	buffer_gl0_inv
	s_and_saveexec_b32 s0, vcc_lo
	s_cbranch_execz .LBB0_7
; %bb.6:
	v_mul_f32_e32 v86, 0x3df6dbef, v30
	v_mul_f32_e32 v85, 0xbf788fa5, v31
	;; [unrolled: 1-line block ×3, first 2 shown]
	v_add_f32_e32 v3, v3, v1
	v_add_f32_e32 v2, v2, v0
	v_fmamk_f32 v88, v51, 0x3f7e222b, v86
	v_mul_f32_e32 v84, 0xbeb58ec6, v33
	v_mul_f32_e32 v89, 0xbe750f2a, v61
	v_fmamk_f32 v90, v52, 0x3e750f2a, v85
	v_fmamk_f32 v91, v28, 0x3df6dbef, v87
	v_add_f32_e32 v88, v88, v1
	v_add_f32_e32 v3, v25, v3
	;; [unrolled: 1-line block ×3, first 2 shown]
	v_fmamk_f32 v24, v53, 0xbf6f5d39, v84
	v_add_f32_e32 v25, v91, v0
	v_add_f32_e32 v88, v90, v88
	;; [unrolled: 1-line block ×3, first 2 shown]
	v_fmamk_f32 v27, v29, 0xbf788fa5, v89
	v_mul_f32_e32 v90, 0x3f6f5d39, v67
	v_mul_f32_e32 v91, 0x3f62ad3f, v35
	v_add_f32_e32 v2, v26, v2
	v_add_f32_e32 v24, v24, v88
	;; [unrolled: 1-line block ×3, first 2 shown]
	v_fmamk_f32 v26, v32, 0xbeb58ec6, v90
	v_fmamk_f32 v27, v54, 0xbeedf032, v91
	v_add_f32_e32 v3, v17, v3
	v_add_f32_e32 v2, v16, v2
	v_mul_f32_e32 v88, 0x3eedf032, v76
	v_mul_f32_e32 v92, 0x3f116cb1, v37
	v_add_f32_e32 v16, v26, v25
	v_add_f32_e32 v93, v19, v3
	;; [unrolled: 1-line block ×3, first 2 shown]
	v_fmamk_f32 v2, v34, 0x3f62ad3f, v88
	v_mul_f32_e32 v95, 0xbf52af12, v82
	v_add_f32_e32 v3, v27, v24
	v_fmamk_f32 v17, v60, 0x3f52af12, v92
	v_mul_f32_e32 v18, 0xbf3f9e67, v30
	v_add_f32_e32 v2, v2, v16
	;; [unrolled: 3-line block ×4, first 2 shown]
	v_mul_f32_e32 v26, 0x3f116cb1, v33
	v_mul_f32_e32 v99, 0x3f7e222b, v61
	v_add_f32_e32 v16, v17, v1
	v_fmamk_f32 v17, v52, 0xbf7e222b, v19
	v_fmamk_f32 v98, v28, 0xbf3f9e67, v25
	v_mul_f32_e32 v96, 0xbf3f9e67, v43
	v_mul_f32_e32 v100, 0xbf788fa5, v35
	v_fmamk_f32 v101, v29, 0x3df6dbef, v99
	v_add_f32_e32 v16, v17, v16
	v_fmamk_f32 v17, v53, 0x3f52af12, v26
	v_add_f32_e32 v98, v98, v0
	v_mul_f32_e32 v102, 0xbf52af12, v67
	v_fmamk_f32 v24, v83, 0x3f29c268, v96
	v_mul_f32_e32 v103, 0x3f62ad3f, v37
	v_add_f32_e32 v16, v17, v16
	v_fmamk_f32 v17, v54, 0xbe750f2a, v100
	v_add_f32_e32 v98, v101, v98
	v_fmamk_f32 v101, v32, 0x3f116cb1, v102
	v_mul_f32_e32 v104, 0x3e750f2a, v76
	v_mul_f32_e32 v97, 0xbf29c268, v81
	v_add_f32_e32 v3, v24, v3
	v_add_f32_e32 v16, v17, v16
	v_fmamk_f32 v17, v60, 0xbeedf032, v103
	v_add_f32_e32 v24, v101, v98
	v_fmamk_f32 v98, v34, 0xbf788fa5, v104
	v_mul_f32_e32 v101, 0x3eedf032, v82
	v_mul_f32_e32 v105, 0xbeb58ec6, v43
	v_fmamk_f32 v27, v39, 0xbf3f9e67, v97
	v_add_f32_e32 v16, v17, v16
	v_mul_f32_e32 v106, 0xbe750f2a, v51
	v_add_f32_e32 v17, v98, v24
	v_fmamk_f32 v24, v36, 0x3f62ad3f, v101
	v_fmamk_f32 v98, v83, 0x3f6f5d39, v105
	v_add_f32_e32 v2, v27, v2
	v_fmamk_f32 v27, v30, 0xbf788fa5, v106
	v_mul_f32_e32 v107, 0x3eedf032, v52
	v_add_f32_e32 v24, v24, v17
	v_add_f32_e32 v17, v98, v16
	v_mul_f32_e32 v98, 0xbe750f2a, v59
	v_add_f32_e32 v16, v27, v1
	v_fmamk_f32 v27, v31, 0x3f62ad3f, v107
	v_mul_f32_e32 v108, 0xbf29c268, v53
	v_mul_f32_e32 v111, 0x3eedf032, v61
	v_fma_f32 v110, 0xbf788fa5, v28, -v98
	v_mul_f32_e32 v109, 0xbf6f5d39, v81
	v_add_f32_e32 v16, v27, v16
	v_fmamk_f32 v27, v33, 0xbf3f9e67, v108
	v_mul_f32_e32 v112, 0x3f52af12, v54
	v_add_f32_e32 v110, v110, v0
	v_fma_f32 v113, 0x3f62ad3f, v29, -v111
	v_mul_f32_e32 v114, 0xbf29c268, v67
	v_fmamk_f32 v115, v39, 0xbeb58ec6, v109
	v_add_f32_e32 v27, v27, v16
	v_fmamk_f32 v116, v35, 0x3f116cb1, v112
	v_add_f32_e32 v110, v113, v110
	v_fma_f32 v113, 0xbf3f9e67, v32, -v114
	v_mul_f32_e32 v117, 0x3f52af12, v76
	v_fmac_f32_e32 v18, 0xbf29c268, v51
	v_fma_f32 v25, 0xbf3f9e67, v28, -v25
	v_add_f32_e32 v16, v115, v24
	v_add_f32_e32 v24, v116, v27
	;; [unrolled: 1-line block ×3, first 2 shown]
	v_fma_f32 v110, 0x3f116cb1, v34, -v117
	v_mul_f32_e32 v113, 0xbf6f5d39, v82
	v_add_f32_e32 v18, v18, v1
	v_fmac_f32_e32 v19, 0x3f7e222b, v52
	v_add_f32_e32 v25, v25, v0
	v_fma_f32 v99, 0x3df6dbef, v29, -v99
	v_mul_f32_e32 v115, 0xbf6f5d39, v60
	v_add_f32_e32 v27, v110, v27
	v_fma_f32 v110, 0xbeb58ec6, v36, -v113
	v_add_f32_e32 v18, v19, v18
	v_fmac_f32_e32 v26, 0xbf52af12, v53
	v_add_f32_e32 v19, v99, v25
	v_fma_f32 v25, 0x3f116cb1, v32, -v102
	v_mul_f32_e32 v102, 0x3f7e222b, v81
	v_fmamk_f32 v116, v37, 0xbeb58ec6, v115
	v_add_f32_e32 v27, v110, v27
	v_mul_f32_e32 v99, 0x3f7e222b, v83
	v_add_f32_e32 v18, v26, v18
	v_fmac_f32_e32 v100, 0x3e750f2a, v54
	v_add_f32_e32 v19, v25, v19
	v_fma_f32 v25, 0xbf788fa5, v34, -v104
	v_fma_f32 v104, 0x3df6dbef, v39, -v102
	v_add_f32_e32 v24, v116, v24
	v_fmamk_f32 v26, v43, 0x3df6dbef, v99
	v_add_f32_e32 v100, v100, v18
	v_fmac_f32_e32 v103, 0x3eedf032, v60
	v_add_f32_e32 v25, v25, v19
	v_fma_f32 v101, 0x3f62ad3f, v36, -v101
	v_add_f32_e32 v18, v104, v27
	v_mul_f32_e32 v104, 0xbf6f5d39, v51
	v_add_f32_e32 v19, v26, v24
	v_add_f32_e32 v24, v103, v100
	;; [unrolled: 1-line block ×3, first 2 shown]
	v_mul_f32_e32 v59, 0xbf6f5d39, v59
	v_fmamk_f32 v25, v30, 0xbeb58ec6, v104
	v_mul_f32_e32 v100, 0x3f29c268, v52
	v_fma_f32 v27, 0xbeb58ec6, v39, -v109
	v_mul_f32_e32 v61, 0x3f29c268, v61
	v_fma_f32 v101, 0xbeb58ec6, v28, -v59
	v_add_f32_e32 v25, v25, v1
	v_fmamk_f32 v103, v31, 0xbf3f9e67, v100
	v_mul_f32_e32 v109, 0x3eedf032, v53
	v_fma_f32 v110, 0xbf3f9e67, v29, -v61
	v_add_f32_e32 v101, v101, v0
	v_mul_f32_e32 v67, 0x3eedf032, v67
	v_add_f32_e32 v25, v103, v25
	v_fmamk_f32 v103, v33, 0x3f62ad3f, v109
	v_mul_f32_e32 v116, 0xbf7e222b, v54
	v_fmac_f32_e32 v105, 0xbf6f5d39, v83
	v_add_f32_e32 v101, v110, v101
	v_fma_f32 v110, 0x3f62ad3f, v32, -v67
	v_mul_f32_e32 v76, 0xbf7e222b, v76
	v_add_f32_e32 v25, v103, v25
	v_fmamk_f32 v103, v35, 0x3df6dbef, v116
	v_mul_f32_e32 v118, 0x3e750f2a, v60
	v_add_f32_e32 v101, v110, v101
	v_fma_f32 v110, 0x3df6dbef, v34, -v76
	v_mul_f32_e32 v82, 0x3e750f2a, v82
	v_add_f32_e32 v103, v103, v25
	v_fmamk_f32 v119, v37, 0xbf788fa5, v118
	v_add_f32_e32 v25, v105, v24
	v_add_f32_e32 v24, v27, v26
	v_fmac_f32_e32 v86, 0xbf7e222b, v51
	v_fma_f32 v27, 0x3df6dbef, v28, -v87
	v_mul_f32_e32 v87, 0x3f52af12, v83
	v_add_f32_e32 v101, v110, v101
	v_fma_f32 v105, 0xbf788fa5, v36, -v82
	v_add_f32_e32 v26, v119, v103
	v_fmac_f32_e32 v85, 0xbe750f2a, v52
	v_add_f32_e32 v52, v86, v1
	v_add_f32_e32 v27, v27, v0
	v_fma_f32 v86, 0xbf788fa5, v29, -v89
	v_mul_f32_e32 v81, 0x3f52af12, v81
	v_fmamk_f32 v89, v43, 0x3f116cb1, v87
	v_add_f32_e32 v51, v105, v101
	v_add_f32_e32 v52, v85, v52
	v_fmac_f32_e32 v84, 0x3f6f5d39, v53
	v_add_f32_e32 v53, v86, v27
	v_fma_f32 v85, 0xbeb58ec6, v32, -v90
	v_add_f32_e32 v27, v89, v26
	v_fma_f32 v26, 0x3f116cb1, v39, -v81
	v_fmac_f32_e32 v91, 0x3eedf032, v54
	v_fma_f32 v54, 0x3f62ad3f, v34, -v88
	v_add_f32_e32 v53, v85, v53
	v_fmac_f32_e32 v92, 0xbf52af12, v60
	v_add_f32_e32 v26, v26, v51
	v_mul_f32_e32 v51, 0x3f116cb1, v30
	v_fma_f32 v60, 0x3f116cb1, v36, -v95
	v_add_f32_e32 v53, v54, v53
	v_mul_f32_e32 v54, 0xbeb58ec6, v31
	v_add_f32_e32 v13, v13, v93
	v_add_f32_e32 v51, v79, v51
	v_mul_f32_e32 v79, 0xbf788fa5, v33
	v_add_f32_e32 v53, v60, v53
	;; [unrolled: 3-line block ×3, first 2 shown]
	v_fma_f32 v80, 0xbf3f9e67, v39, -v97
	v_add_f32_e32 v13, v15, v13
	v_add_f32_e32 v15, v12, v94
	v_sub_f32_e32 v60, v60, v65
	v_add_f32_e32 v51, v54, v51
	v_mul_f32_e32 v54, 0xbeb58ec6, v29
	v_add_f32_e32 v65, v77, v79
	v_mul_f32_e32 v77, 0xbf3f9e67, v35
	v_add_f32_e32 v60, v60, v0
	v_add_f32_e32 v9, v9, v13
	v_sub_f32_e32 v54, v54, v68
	v_mul_f32_e32 v68, 0xbf788fa5, v32
	v_add_f32_e32 v65, v65, v51
	v_add_f32_e32 v77, v78, v77
	;; [unrolled: 1-line block ×4, first 2 shown]
	v_mul_f32_e32 v54, 0x3df6dbef, v37
	v_sub_f32_e32 v60, v68, v69
	v_mul_f32_e32 v68, 0x3f62ad3f, v30
	v_add_f32_e32 v65, v77, v65
	v_mul_f32_e32 v69, 0xbf3f9e67, v34
	v_add_f32_e32 v54, v70, v54
	v_add_f32_e32 v53, v60, v53
	v_mul_f32_e32 v60, 0x3f116cb1, v31
	v_add_f32_e32 v42, v42, v68
	v_sub_f32_e32 v62, v69, v62
	v_add_f32_e32 v54, v54, v65
	v_mul_f32_e32 v65, 0x3df6dbef, v36
	v_add_f32_e32 v45, v45, v60
	v_add_f32_e32 v42, v42, v1
	;; [unrolled: 1-line block ×3, first 2 shown]
	v_fma_f32 v14, 0xbf788fa5, v30, -v106
	v_add_f32_e32 v53, v62, v53
	v_mul_f32_e32 v60, 0x3df6dbef, v33
	v_sub_f32_e32 v63, v65, v63
	v_add_f32_e32 v42, v45, v42
	v_mul_f32_e32 v45, 0x3f62ad3f, v39
	v_add_f32_e32 v9, v11, v9
	v_add_f32_e32 v8, v8, v13
	;; [unrolled: 1-line block ×3, first 2 shown]
	v_fma_f32 v13, 0x3f62ad3f, v31, -v107
	v_add_f32_e32 v47, v47, v60
	v_add_f32_e32 v53, v63, v53
	v_sub_f32_e32 v45, v45, v64
	v_mul_f32_e32 v63, 0x3f62ad3f, v28
	v_add_f32_e32 v5, v5, v9
	v_add_f32_e32 v8, v10, v8
	;; [unrolled: 1-line block ×3, first 2 shown]
	v_fma_f32 v10, 0xbf3f9e67, v33, -v108
	v_mul_f32_e32 v62, 0x3f62ad3f, v43
	v_add_f32_e32 v42, v47, v42
	v_add_f32_e32 v47, v45, v53
	v_mul_f32_e32 v45, 0x3f116cb1, v29
	v_sub_f32_e32 v38, v63, v38
	v_add_f32_e32 v5, v7, v5
	v_add_f32_e32 v4, v4, v8
	;; [unrolled: 1-line block ×3, first 2 shown]
	v_fma_f32 v8, 0x3f116cb1, v35, -v112
	v_fmac_f32_e32 v98, 0xbf788fa5, v28
	v_add_f32_e32 v60, v66, v62
	v_mul_f32_e32 v62, 0xbeb58ec6, v35
	v_mul_f32_e32 v53, 0x3df6dbef, v32
	v_sub_f32_e32 v40, v45, v40
	v_add_f32_e32 v38, v38, v0
	v_add_f32_e32 v4, v6, v4
	;; [unrolled: 1-line block ×3, first 2 shown]
	v_fma_f32 v7, 0xbeb58ec6, v37, -v115
	v_add_f32_e32 v8, v98, v0
	v_fmac_f32_e32 v111, 0x3f62ad3f, v29
	v_fma_f32 v9, 0xbeb58ec6, v30, -v104
	v_fmac_f32_e32 v59, 0xbeb58ec6, v28
	v_add_f32_e32 v62, v48, v62
	v_add_f32_e32 v48, v60, v54
	v_mul_f32_e32 v54, 0xbeb58ec6, v34
	v_add_f32_e32 v38, v40, v38
	v_sub_f32_e32 v40, v53, v41
	v_add_f32_e32 v6, v7, v6
	v_add_f32_e32 v7, v111, v8
	;; [unrolled: 1-line block ×3, first 2 shown]
	v_fma_f32 v8, 0xbf3f9e67, v31, -v100
	v_add_f32_e32 v0, v59, v0
	v_fmac_f32_e32 v61, 0xbf3f9e67, v29
	v_fmac_f32_e32 v114, 0xbf3f9e67, v32
	v_mul_f32_e32 v60, 0xbf3f9e67, v36
	v_add_f32_e32 v15, v40, v38
	v_sub_f32_e32 v38, v54, v44
	v_add_f32_e32 v1, v8, v1
	v_fma_f32 v8, 0x3f62ad3f, v33, -v109
	v_add_f32_e32 v0, v61, v0
	v_fmac_f32_e32 v67, 0x3f62ad3f, v32
	v_mul_f32_e32 v64, 0xbf3f9e67, v37
	v_add_f32_e32 v52, v84, v52
	v_add_f32_e32 v7, v114, v7
	v_fmac_f32_e32 v117, 0x3f116cb1, v34
	v_mul_f32_e32 v45, 0xbf788fa5, v39
	v_add_f32_e32 v14, v38, v15
	v_sub_f32_e32 v15, v60, v46
	v_add_f32_e32 v1, v8, v1
	v_fma_f32 v8, 0x3df6dbef, v35, -v116
	v_add_f32_e32 v0, v67, v0
	v_fmac_f32_e32 v76, 0x3df6dbef, v34
	v_add_f32_e32 v42, v62, v42
	v_add_f32_e32 v49, v49, v64
	v_mul_f32_e32 v62, 0xbf788fa5, v43
	v_add_f32_e32 v52, v91, v52
	v_add_f32_e32 v7, v117, v7
	v_fmac_f32_e32 v113, 0xbeb58ec6, v36
	v_add_f32_e32 v11, v15, v14
	v_sub_f32_e32 v13, v45, v50
	v_add_f32_e32 v1, v8, v1
	v_fma_f32 v8, 0xbf788fa5, v37, -v118
	v_add_f32_e32 v0, v76, v0
	v_fmac_f32_e32 v82, 0xbf788fa5, v36
	v_add_f32_e32 v42, v49, v42
	v_add_f32_e32 v49, v55, v62
	v_and_b32_e32 v10, 0xffff, v75
	v_add_f32_e32 v52, v92, v52
	v_fmac_f32_e32 v96, 0xbf29c268, v83
	v_fma_f32 v9, 0x3df6dbef, v43, -v99
	v_add_f32_e32 v7, v113, v7
	v_fmac_f32_e32 v102, 0x3df6dbef, v39
	v_add_f32_e32 v11, v13, v11
	v_add_f32_e32 v8, v8, v1
	v_fma_f32 v13, 0x3f116cb1, v43, -v87
	v_add_f32_e32 v14, v82, v0
	v_fmac_f32_e32 v81, 0x3f116cb1, v39
	v_add_f32_e32 v12, v49, v42
	v_add_f32_e32 v5, v21, v5
	;; [unrolled: 1-line block ×3, first 2 shown]
	v_add_lshl_u32 v10, v71, v10, 3
	v_add_f32_e32 v52, v96, v52
	v_add_f32_e32 v1, v9, v6
	;; [unrolled: 1-line block ×5, first 2 shown]
	ds_write2_b64 v10, v[4:5], v[11:12] offset1:1
	ds_write2_b64 v10, v[47:48], v[51:52] offset0:2 offset1:3
	ds_write2_b64 v10, v[26:27], v[24:25] offset0:4 offset1:5
	;; [unrolled: 1-line block ×5, first 2 shown]
	ds_write_b64 v10, v[57:58] offset:96
.LBB0_7:
	s_or_b32 exec_lo, exec_lo, s0
	v_add_co_u32 v36, s0, v73, -13
	v_add_co_ci_u32_e64 v37, null, 0, -1, s0
	v_cmp_gt_u16_e64 s0, 13, v73
	s_load_dwordx4 s[4:7], s[6:7], 0x0
	s_waitcnt lgkmcnt(0)
	s_barrier
	buffer_gl0_inv
	v_cndmask_b32_e64 v20, v36, v73, s0
	v_add_lshl_u32 v76, v71, v73, 3
	v_mul_hi_i32_i24_e32 v1, 10, v20
	v_mul_i32_i24_e32 v0, 10, v20
	v_lshlrev_b64 v[0:1], 3, v[0:1]
	v_add_co_u32 v12, s1, s2, v0
	v_add_co_ci_u32_e64 v13, s1, s3, v1, s1
	s_clause 0x4
	global_load_dwordx4 v[16:19], v[12:13], off
	global_load_dwordx4 v[8:11], v[12:13], off offset:16
	global_load_dwordx4 v[4:7], v[12:13], off offset:32
	;; [unrolled: 1-line block ×4, first 2 shown]
	v_cmp_lt_u16_e64 s1, 12, v73
	ds_read2_b64 v[24:27], v76 offset1:26
	ds_read2_b64 v[28:31], v76 offset0:52 offset1:78
	ds_read2_b64 v[32:35], v76 offset0:104 offset1:130
	;; [unrolled: 1-line block ×3, first 2 shown]
	v_cndmask_b32_e64 v21, 0, 0x8f, s1
	v_add_nc_u32_e32 v46, v20, v21
	ds_read2_b64 v[42:45], v76 offset0:208 offset1:234
	ds_read_b64 v[20:21], v76 offset:2080
	s_waitcnt vmcnt(0) lgkmcnt(0)
	s_barrier
	buffer_gl0_inv
	v_add_lshl_u32 v77, v71, v46, 3
	v_mul_f32_e32 v46, v27, v17
	v_mul_f32_e32 v47, v26, v17
	;; [unrolled: 1-line block ×9, first 2 shown]
	v_fma_f32 v26, v26, v16, -v46
	v_fmac_f32_e32 v47, v27, v16
	v_mul_f32_e32 v50, v31, v9
	v_mul_f32_e32 v51, v30, v9
	;; [unrolled: 1-line block ×11, first 2 shown]
	v_fma_f32 v27, v28, v18, -v48
	v_fmac_f32_e32 v49, v29, v18
	v_fmac_f32_e32 v53, v33, v10
	v_fma_f32 v33, v42, v2, -v63
	v_fma_f32 v42, v44, v12, -v65
	;; [unrolled: 1-line block ×3, first 2 shown]
	v_fmac_f32_e32 v68, v21, v14
	v_add_f32_e32 v20, v24, v26
	v_add_f32_e32 v21, v25, v47
	v_fma_f32 v28, v30, v8, -v50
	v_fmac_f32_e32 v51, v31, v8
	v_fma_f32 v29, v32, v10, -v52
	v_fma_f32 v30, v34, v4, -v54
	v_fmac_f32_e32 v55, v35, v4
	v_fma_f32 v31, v38, v6, -v59
	v_fmac_f32_e32 v60, v39, v6
	;; [unrolled: 2-line block ×3, first 2 shown]
	v_fmac_f32_e32 v64, v43, v2
	v_fmac_f32_e32 v66, v45, v12
	v_add_f32_e32 v34, v26, v44
	v_sub_f32_e32 v26, v26, v44
	v_sub_f32_e32 v38, v47, v68
	v_add_f32_e32 v20, v20, v27
	v_add_f32_e32 v21, v21, v49
	;; [unrolled: 1-line block ×5, first 2 shown]
	v_sub_f32_e32 v41, v27, v42
	v_sub_f32_e32 v43, v49, v66
	;; [unrolled: 1-line block ×8, first 2 shown]
	v_mul_f32_e32 v27, 0xbf0a6770, v38
	v_mul_f32_e32 v49, 0xbf0a6770, v26
	;; [unrolled: 1-line block ×9, first 2 shown]
	v_add_f32_e32 v20, v20, v28
	v_add_f32_e32 v21, v21, v51
	v_mul_f32_e32 v38, 0xbe903f40, v38
	v_add_f32_e32 v45, v28, v33
	v_add_f32_e32 v46, v51, v64
	;; [unrolled: 1-line block ×6, first 2 shown]
	v_mul_f32_e32 v82, 0xbf68dda4, v43
	v_mul_f32_e32 v83, 0xbf68dda4, v41
	;; [unrolled: 1-line block ×40, first 2 shown]
	v_fma_f32 v28, 0x3f575c64, v34, -v27
	v_fmamk_f32 v51, v35, 0x3f575c64, v49
	v_fmac_f32_e32 v27, 0x3f575c64, v34
	v_fma_f32 v49, 0x3f575c64, v35, -v49
	v_fma_f32 v114, 0x3ed4b147, v34, -v69
	v_fmamk_f32 v115, v35, 0x3ed4b147, v70
	v_fmac_f32_e32 v69, 0x3ed4b147, v34
	v_fma_f32 v70, 0x3ed4b147, v35, -v70
	;; [unrolled: 4-line block ×4, first 2 shown]
	v_fmamk_f32 v121, v35, 0xbf75a155, v26
	v_fma_f32 v26, 0xbf75a155, v35, -v26
	v_add_f32_e32 v20, v20, v29
	v_add_f32_e32 v21, v21, v53
	v_fma_f32 v120, 0xbf75a155, v34, -v38
	v_fmac_f32_e32 v38, 0xbf75a155, v34
	v_fma_f32 v34, 0x3ed4b147, v39, -v82
	v_fmamk_f32 v35, v40, 0x3ed4b147, v83
	v_fmac_f32_e32 v82, 0x3ed4b147, v39
	v_fma_f32 v83, 0x3ed4b147, v40, -v83
	v_fma_f32 v122, 0xbf27a4f4, v39, -v84
	v_fmamk_f32 v123, v40, 0xbf27a4f4, v85
	v_fmac_f32_e32 v84, 0xbf27a4f4, v39
	v_fma_f32 v85, 0xbf27a4f4, v40, -v85
	;; [unrolled: 4-line block ×11, first 2 shown]
	v_fma_f32 v138, 0xbe11bafb, v50, -v100
	v_fmac_f32_e32 v100, 0xbe11bafb, v50
	v_fma_f32 v139, 0x3f575c64, v50, -v102
	v_fmac_f32_e32 v102, 0x3f575c64, v50
	;; [unrolled: 2-line block ×4, first 2 shown]
	v_fmamk_f32 v50, v52, 0xbe11bafb, v101
	v_fma_f32 v101, 0xbe11bafb, v52, -v101
	v_fmamk_f32 v142, v52, 0x3f575c64, v103
	v_fma_f32 v103, 0x3f575c64, v52, -v103
	;; [unrolled: 2-line block ×4, first 2 shown]
	v_fma_f32 v54, 0xbf75a155, v63, -v106
	v_fmac_f32_e32 v106, 0xbf75a155, v63
	v_fma_f32 v145, 0x3f575c64, v63, -v107
	v_fmac_f32_e32 v107, 0x3f575c64, v63
	;; [unrolled: 2-line block ×5, first 2 shown]
	v_fmamk_f32 v63, v67, 0xbf75a155, v110
	v_fma_f32 v110, 0xbf75a155, v67, -v110
	v_fmamk_f32 v149, v67, 0x3f575c64, v111
	v_fma_f32 v111, 0x3f575c64, v67, -v111
	v_fmamk_f32 v150, v67, 0xbf27a4f4, v112
	v_fma_f32 v112, 0xbf27a4f4, v67, -v112
	v_fmamk_f32 v151, v67, 0x3ed4b147, v113
	v_fma_f32 v113, 0x3ed4b147, v67, -v113
	v_fmamk_f32 v152, v67, 0xbe11bafb, v65
	v_fma_f32 v65, 0xbe11bafb, v67, -v65
	v_add_f32_e32 v28, v24, v28
	v_add_f32_e32 v51, v25, v51
	v_add_f32_e32 v27, v24, v27
	v_add_f32_e32 v49, v25, v49
	v_add_f32_e32 v67, v24, v114
	v_add_f32_e32 v114, v25, v115
	v_add_f32_e32 v69, v24, v69
	v_add_f32_e32 v70, v25, v70
	v_add_f32_e32 v115, v24, v116
	v_add_f32_e32 v116, v25, v117
	v_add_f32_e32 v78, v24, v78
	v_add_f32_e32 v79, v25, v79
	v_add_f32_e32 v117, v24, v118
	v_add_f32_e32 v118, v25, v119
	v_add_f32_e32 v80, v24, v80
	v_add_f32_e32 v81, v25, v81
	v_add_f32_e32 v29, v25, v121
	v_add_f32_e32 v25, v25, v26
	v_add_f32_e32 v20, v20, v30
	v_add_f32_e32 v21, v21, v55
	v_add_f32_e32 v119, v24, v120
	v_add_f32_e32 v24, v24, v38
	v_add_f32_e32 v26, v34, v28
	v_add_f32_e32 v28, v35, v51
	v_add_f32_e32 v27, v82, v27
	v_add_f32_e32 v30, v83, v49
	v_add_f32_e32 v34, v122, v67
	v_add_f32_e32 v35, v123, v114
	v_add_f32_e32 v38, v84, v69
	v_add_f32_e32 v49, v85, v70
	v_add_f32_e32 v51, v124, v115
	v_add_f32_e32 v53, v125, v116
	v_add_f32_e32 v55, v86, v78
	v_add_f32_e32 v70, v127, v118
	v_add_f32_e32 v78, v88, v80
	v_add_f32_e32 v25, v39, v25
	v_add_f32_e32 v20, v20, v31
	v_add_f32_e32 v21, v21, v60
	v_add_f32_e32 v67, v87, v79
	v_add_f32_e32 v69, v126, v117
	v_add_f32_e32 v80, v128, v119
	v_add_f32_e32 v29, v129, v29
	v_add_f32_e32 v79, v89, v81
	v_add_f32_e32 v24, v43, v24
	v_add_f32_e32 v26, v40, v26
	v_add_f32_e32 v27, v90, v27
	v_add_f32_e32 v30, v91, v30
	v_add_f32_e32 v31, v130, v34
	v_add_f32_e32 v34, v131, v35
	v_add_f32_e32 v35, v92, v38
	v_add_f32_e32 v38, v93, v49
	v_add_f32_e32 v39, v132, v51
	v_add_f32_e32 v40, v133, v53
	v_add_f32_e32 v51, v135, v70
	v_add_f32_e32 v53, v96, v78
	v_add_f32_e32 v25, v45, v25
	v_add_f32_e32 v20, v20, v32
	v_add_f32_e32 v21, v21, v62
	v_add_f32_e32 v28, v41, v28
	v_add_f32_e32 v41, v94, v55
	v_add_f32_e32 v43, v95, v67
	v_add_f32_e32 v49, v134, v69
	v_add_f32_e32 v60, v136, v80
	v_add_f32_e32 v29, v137, v29
	v_add_f32_e32 v55, v97, v79
	v_add_f32_e32 v24, v48, v24
	v_add_f32_e32 v26, v46, v26
	v_add_f32_e32 v27, v98, v27
	v_add_f32_e32 v30, v99, v30
	v_add_f32_e32 v31, v138, v31
	v_add_f32_e32 v32, v50, v34
	v_add_f32_e32 v34, v100, v35
	v_add_f32_e32 v35, v101, v38
	v_add_f32_e32 v38, v139, v39
	v_add_f32_e32 v39, v142, v40
	v_add_f32_e32 v45, v143, v51
	v_add_f32_e32 v46, v104, v53
	v_add_f32_e32 v51, v52, v25
	v_add_f32_e32 v52, v20, v33
	v_add_f32_e32 v53, v21, v64
	v_add_f32_e32 v28, v47, v28
	v_add_f32_e32 v40, v102, v41
	v_add_f32_e32 v41, v103, v43
	v_add_f32_e32 v43, v140, v49
	v_add_f32_e32 v48, v141, v60
	v_add_f32_e32 v49, v144, v29
	v_add_f32_e32 v47, v105, v55
	v_add_f32_e32 v50, v59, v24
	v_add_f32_e32 v24, v54, v26
	v_add_f32_e32 v20, v106, v27
	v_add_f32_e32 v21, v110, v30
	v_add_f32_e32 v26, v145, v31
	v_add_f32_e32 v27, v149, v32
	v_add_f32_e32 v29, v111, v35
	v_add_f32_e32 v30, v146, v38
	v_add_f32_e32 v31, v150, v39
	v_add_f32_e32 v35, v151, v45
	v_add_f32_e32 v38, v109, v46
	v_add_f32_e32 v45, v52, v42
	v_add_f32_e32 v46, v53, v66
	v_add_f32_e32 v25, v63, v28
	v_add_f32_e32 v28, v107, v34
	v_add_f32_e32 v32, v108, v40
	v_add_f32_e32 v33, v112, v41
	v_add_f32_e32 v34, v147, v43
	v_add_f32_e32 v40, v148, v48
	v_add_f32_e32 v41, v152, v49
	v_add_f32_e32 v39, v113, v47
	v_add_f32_e32 v42, v61, v50
	v_add_f32_e32 v43, v65, v51
	ds_write2_b64 v77, v[26:27], v[30:31] offset0:26 offset1:39
	v_add_f32_e32 v26, v45, v44
	v_add_f32_e32 v27, v46, v68
	ds_write2_b64 v77, v[34:35], v[40:41] offset0:52 offset1:65
	ds_write2_b64 v77, v[42:43], v[38:39] offset0:78 offset1:91
	;; [unrolled: 1-line block ×3, first 2 shown]
	ds_write_b64 v77, v[20:21] offset:1040
	ds_write2_b64 v77, v[26:27], v[24:25] offset1:13
	s_waitcnt lgkmcnt(0)
	s_barrier
	buffer_gl0_inv
	ds_read2_b64 v[48:51], v76 offset1:26
	ds_read2_b64 v[28:31], v76 offset0:104 offset1:143
	ds_read2_b64 v[24:27], v76 offset0:169 offset1:195
	;; [unrolled: 1-line block ×4, first 2 shown]
	s_and_saveexec_b32 s1, s0
	s_cbranch_execz .LBB0_9
; %bb.8:
	v_add_nc_u32_e32 v20, 0x400, v76
	v_add_co_u32 v36, s8, 0x82, v73
	v_add_co_ci_u32_e64 v37, null, 0, 0, s8
	ds_read2_b64 v[20:23], v20 offset0:2 offset1:145
.LBB0_9:
	s_or_b32 exec_lo, exec_lo, s1
	v_lshlrev_b64 v[36:37], 3, v[36:37]
	s_clause 0x4
	global_load_dwordx2 v[65:66], v72, s[2:3] offset:1040
	global_load_dwordx2 v[69:70], v72, s[2:3] offset:1248
	global_load_dwordx2 v[61:62], v72, s[2:3] offset:1456
	global_load_dwordx2 v[63:64], v72, s[2:3] offset:1664
	global_load_dwordx2 v[67:68], v72, s[2:3] offset:1872
	v_lshl_add_u32 v78, v73, 3, v74
	v_add_nc_u32_e32 v79, v72, v74
	v_add_co_u32 v36, s1, s2, v36
	v_add_co_ci_u32_e64 v37, s1, s3, v37, s1
	global_load_dwordx2 v[59:60], v[36:37], off offset:1040
	s_waitcnt vmcnt(5) lgkmcnt(3)
	v_mul_f32_e32 v36, v31, v66
	v_mul_f32_e32 v37, v30, v66
	s_waitcnt vmcnt(4) lgkmcnt(2)
	v_mul_f32_e32 v38, v25, v70
	s_waitcnt vmcnt(2) lgkmcnt(0)
	v_mul_f32_e32 v42, v33, v64
	v_mul_f32_e32 v39, v24, v70
	;; [unrolled: 1-line block ×3, first 2 shown]
	v_fma_f32 v30, v30, v65, -v36
	v_fmac_f32_e32 v37, v31, v65
	v_fma_f32 v31, v32, v63, -v42
	v_mul_f32_e32 v41, v26, v62
	v_mul_f32_e32 v44, v32, v64
	s_waitcnt vmcnt(1)
	v_mul_f32_e32 v43, v35, v68
	v_mul_f32_e32 v45, v34, v68
	v_fma_f32 v24, v24, v69, -v38
	v_fmac_f32_e32 v39, v25, v69
	v_fma_f32 v25, v26, v61, -v40
	v_sub_f32_e32 v26, v48, v30
	v_sub_f32_e32 v38, v54, v31
	s_waitcnt vmcnt(0)
	v_mul_f32_e32 v30, v23, v60
	v_mul_f32_e32 v31, v22, v60
	v_fmac_f32_e32 v41, v27, v61
	v_fmac_f32_e32 v44, v33, v63
	v_fma_f32 v32, v34, v67, -v43
	v_fmac_f32_e32 v45, v35, v67
	v_fma_f32 v22, v22, v59, -v30
	v_fmac_f32_e32 v31, v23, v59
	v_sub_f32_e32 v27, v49, v37
	v_sub_f32_e32 v46, v50, v24
	;; [unrolled: 1-line block ×10, first 2 shown]
	v_fma_f32 v24, v48, 2.0, -v26
	v_fma_f32 v25, v49, 2.0, -v27
	;; [unrolled: 1-line block ×12, first 2 shown]
	ds_write2_b64 v78, v[24:25], v[44:45] offset1:26
	ds_write2_b64 v78, v[46:47], v[42:43] offset0:169 offset1:195
	ds_write2_b64 v78, v[40:41], v[36:37] offset0:52 offset1:78
	ds_write_b64 v78, v[38:39] offset:1768
	ds_write2_b64 v78, v[32:33], v[26:27] offset0:104 offset1:143
	ds_write_b64 v79, v[34:35] offset:1976
	s_and_saveexec_b32 s1, s0
	s_cbranch_execz .LBB0_11
; %bb.10:
	v_add_nc_u32_e32 v20, 0x400, v78
	ds_write2_b64 v20, v[28:29], v[30:31] offset0:2 offset1:145
.LBB0_11:
	s_or_b32 exec_lo, exec_lo, s1
	s_waitcnt lgkmcnt(0)
	s_barrier
	buffer_gl0_inv
	s_and_saveexec_b32 s2, vcc_lo
	s_cbranch_execz .LBB0_13
; %bb.12:
	v_add_co_u32 v48, s1, s14, v72
	v_add_co_ci_u32_e64 v49, null, s15, 0, s1
	v_add_co_u32 v20, s1, 0x800, v48
	v_add_co_ci_u32_e64 v21, s1, 0, v49, s1
	v_add_co_u32 v22, s1, 0x8f0, v48
	v_add_co_ci_u32_e64 v23, s1, 0, v49, s1
	s_clause 0x9
	global_load_dwordx2 v[92:93], v[20:21], off offset:240
	global_load_dwordx2 v[94:95], v[22:23], off offset:176
	;; [unrolled: 1-line block ×10, first 2 shown]
	v_add_co_u32 v20, s1, 0x1000, v48
	v_add_co_ci_u32_e64 v21, s1, 0, v49, s1
	s_clause 0x2
	global_load_dwordx2 v[112:113], v[22:23], off offset:1760
	global_load_dwordx2 v[114:115], v[22:23], off offset:1936
	;; [unrolled: 1-line block ×3, first 2 shown]
	ds_read2_b64 v[20:23], v78 offset1:22
	ds_read2_b64 v[48:51], v78 offset0:44 offset1:66
	ds_read2_b64 v[52:55], v78 offset0:88 offset1:110
	;; [unrolled: 1-line block ×5, first 2 shown]
	ds_read_b64 v[118:119], v78 offset:2112
	s_waitcnt vmcnt(12) lgkmcnt(6)
	v_mul_f32_e32 v120, v21, v93
	v_mul_f32_e32 v121, v20, v93
	s_waitcnt vmcnt(11)
	v_mul_f32_e32 v122, v23, v95
	v_mul_f32_e32 v93, v22, v95
	s_waitcnt vmcnt(10) lgkmcnt(5)
	v_mul_f32_e32 v123, v49, v97
	v_mul_f32_e32 v95, v48, v97
	s_waitcnt vmcnt(9)
	v_mul_f32_e32 v124, v51, v99
	v_mul_f32_e32 v97, v50, v99
	;; [unrolled: 6-line block ×6, first 2 shown]
	s_waitcnt vmcnt(0) lgkmcnt(0)
	v_mul_f32_e32 v133, v119, v117
	v_mul_f32_e32 v115, v118, v117
	v_fma_f32 v120, v20, v92, -v120
	v_fmac_f32_e32 v121, v21, v92
	v_fma_f32 v92, v22, v94, -v122
	v_fmac_f32_e32 v93, v23, v94
	;; [unrolled: 2-line block ×13, first 2 shown]
	ds_write2_b64 v78, v[120:121], v[92:93] offset1:22
	ds_write2_b64 v78, v[94:95], v[96:97] offset0:44 offset1:66
	ds_write2_b64 v78, v[98:99], v[100:101] offset0:88 offset1:110
	;; [unrolled: 1-line block ×5, first 2 shown]
	ds_write_b64 v78, v[114:115] offset:2112
.LBB0_13:
	s_or_b32 exec_lo, exec_lo, s2
	s_waitcnt lgkmcnt(0)
	s_barrier
	buffer_gl0_inv
	s_and_saveexec_b32 s1, vcc_lo
	s_cbranch_execz .LBB0_15
; %bb.14:
	ds_read2_b64 v[24:27], v78 offset1:22
	ds_read2_b64 v[44:47], v78 offset0:44 offset1:66
	ds_read2_b64 v[40:43], v78 offset0:88 offset1:110
	;; [unrolled: 1-line block ×5, first 2 shown]
	ds_read_b64 v[57:58], v78 offset:2112
.LBB0_15:
	s_or_b32 exec_lo, exec_lo, s1
	s_waitcnt lgkmcnt(0)
	v_sub_f32_e32 v86, v27, v58
	v_add_f32_e32 v95, v58, v27
	v_add_f32_e32 v50, v57, v26
	v_sub_f32_e32 v53, v26, v57
	v_sub_f32_e32 v87, v45, v31
	v_mul_f32_e32 v98, 0xbf52af12, v86
	v_mul_f32_e32 v101, 0x3f116cb1, v95
	v_add_f32_e32 v96, v31, v45
	v_add_f32_e32 v51, v30, v44
	v_sub_f32_e32 v52, v44, v30
	v_fma_f32 v20, 0x3f116cb1, v50, -v98
	v_fmamk_f32 v21, v53, 0xbf52af12, v101
	v_mul_f32_e32 v99, 0xbf6f5d39, v87
	v_mul_f32_e32 v103, 0xbeb58ec6, v96
	v_sub_f32_e32 v88, v47, v29
	v_add_f32_e32 v97, v29, v47
	v_add_f32_e32 v20, v24, v20
	;; [unrolled: 1-line block ×3, first 2 shown]
	v_fma_f32 v22, 0xbeb58ec6, v51, -v99
	v_fmamk_f32 v23, v52, 0xbf6f5d39, v103
	v_add_f32_e32 v54, v28, v46
	v_mul_f32_e32 v100, 0xbe750f2a, v88
	v_sub_f32_e32 v55, v46, v28
	v_mul_f32_e32 v104, 0xbf788fa5, v97
	v_sub_f32_e32 v89, v41, v35
	v_add_f32_e32 v93, v35, v41
	v_add_f32_e32 v20, v22, v20
	v_add_f32_e32 v21, v23, v21
	v_fma_f32 v22, 0xbf788fa5, v54, -v100
	v_fmamk_f32 v23, v55, 0xbe750f2a, v104
	v_add_f32_e32 v80, v34, v40
	v_sub_f32_e32 v81, v40, v34
	v_mul_f32_e32 v102, 0x3f29c268, v89
	v_mul_f32_e32 v106, 0xbf3f9e67, v93
	v_sub_f32_e32 v90, v43, v33
	v_add_f32_e32 v94, v33, v43
	v_add_f32_e32 v20, v22, v20
	;; [unrolled: 1-line block ×3, first 2 shown]
	v_fma_f32 v22, 0xbf3f9e67, v80, -v102
	v_fmamk_f32 v23, v81, 0x3f29c268, v106
	v_add_f32_e32 v82, v32, v42
	v_mul_f32_e32 v105, 0x3f7e222b, v90
	v_sub_f32_e32 v83, v42, v32
	v_mul_f32_e32 v108, 0x3df6dbef, v94
	v_sub_f32_e32 v91, v37, v39
	v_add_f32_e32 v92, v39, v37
	v_add_f32_e32 v20, v22, v20
	;; [unrolled: 1-line block ×3, first 2 shown]
	v_fma_f32 v22, 0x3df6dbef, v82, -v105
	v_fmamk_f32 v23, v83, 0x3f7e222b, v108
	v_add_f32_e32 v84, v38, v36
	v_sub_f32_e32 v85, v36, v38
	v_mul_f32_e32 v107, 0x3eedf032, v91
	v_mul_f32_e32 v109, 0x3f62ad3f, v92
	v_add_f32_e32 v20, v22, v20
	v_add_f32_e32 v21, v23, v21
	v_fma_f32 v22, 0x3f62ad3f, v84, -v107
	v_fmamk_f32 v23, v85, 0x3eedf032, v109
	s_barrier
	buffer_gl0_inv
	v_add_f32_e32 v20, v22, v20
	v_add_f32_e32 v21, v23, v21
	s_and_saveexec_b32 s1, vcc_lo
	s_cbranch_execz .LBB0_17
; %bb.16:
	v_mul_f32_e32 v114, 0xbf7e222b, v53
	v_mul_f32_e32 v115, 0xbe750f2a, v52
	;; [unrolled: 1-line block ×5, first 2 shown]
	v_fmamk_f32 v22, v95, 0x3df6dbef, v114
	v_fmamk_f32 v23, v96, 0xbf788fa5, v115
	v_fmamk_f32 v48, v97, 0xbeb58ec6, v121
	v_mul_f32_e32 v129, 0xbf52af12, v83
	v_mul_f32_e32 v131, 0xbe750f2a, v87
	v_add_f32_e32 v22, v25, v22
	v_mul_f32_e32 v133, 0x3f6f5d39, v88
	v_mul_f32_e32 v110, 0xbf29c268, v53
	;; [unrolled: 1-line block ×3, first 2 shown]
	v_fma_f32 v49, 0xbf788fa5, v51, -v131
	v_add_f32_e32 v22, v23, v22
	v_fmamk_f32 v23, v93, 0x3f62ad3f, v125
	v_mul_f32_e32 v134, 0xbf29c268, v85
	v_fmamk_f32 v111, v95, 0xbf3f9e67, v110
	v_mul_f32_e32 v112, 0x3f7e222b, v52
	v_add_f32_e32 v22, v48, v22
	v_fma_f32 v48, 0x3df6dbef, v50, -v128
	v_mul_f32_e32 v136, 0xbf52af12, v90
	v_add_f32_e32 v111, v25, v111
	v_fmamk_f32 v113, v96, 0x3df6dbef, v112
	v_add_f32_e32 v22, v23, v22
	v_fmamk_f32 v23, v94, 0x3f116cb1, v129
	v_add_f32_e32 v48, v24, v48
	v_mul_f32_e32 v137, 0xbf52af12, v55
	v_fma_f32 v138, 0x3f116cb1, v82, -v136
	v_mul_f32_e32 v139, 0xbf29c268, v86
	v_add_f32_e32 v22, v23, v22
	v_add_f32_e32 v23, v49, v48
	v_fma_f32 v48, 0xbeb58ec6, v54, -v133
	v_fmamk_f32 v49, v92, 0xbf3f9e67, v134
	v_fma_f32 v141, 0xbf3f9e67, v50, -v139
	v_mul_f32_e32 v142, 0x3f7e222b, v87
	v_add_f32_e32 v27, v27, v25
	v_add_f32_e32 v23, v48, v23
	v_fma_f32 v48, 0x3f62ad3f, v80, -v135
	v_add_f32_e32 v26, v26, v24
	v_mul_f32_e32 v145, 0x3e750f2a, v89
	v_add_f32_e32 v27, v45, v27
	v_mul_f32_e32 v149, 0x3eedf032, v90
	v_add_f32_e32 v48, v48, v23
	v_add_f32_e32 v23, v49, v22
	;; [unrolled: 1-line block ×3, first 2 shown]
	v_fmamk_f32 v49, v97, 0x3f116cb1, v137
	v_mul_f32_e32 v113, 0x3e750f2a, v81
	v_add_f32_e32 v48, v138, v48
	v_mul_f32_e32 v138, 0xbf29c268, v91
	v_add_f32_e32 v27, v47, v27
	v_add_f32_e32 v22, v49, v22
	v_fmamk_f32 v49, v93, 0xbf788fa5, v113
	v_add_f32_e32 v26, v44, v26
	v_fma_f32 v111, 0xbf3f9e67, v84, -v138
	v_mul_f32_e32 v44, 0xbeedf032, v86
	v_add_f32_e32 v27, v41, v27
	v_add_f32_e32 v49, v49, v22
	;; [unrolled: 1-line block ×5, first 2 shown]
	v_fma_f32 v111, 0x3df6dbef, v51, -v142
	v_mul_f32_e32 v141, 0xbf52af12, v88
	v_mul_f32_e32 v152, 0xbf6f5d39, v91
	;; [unrolled: 1-line block ×3, first 2 shown]
	v_fmac_f32_e32 v128, 0x3df6dbef, v50
	v_add_f32_e32 v48, v111, v48
	v_fma_f32 v111, 0x3f116cb1, v54, -v141
	v_fmamk_f32 v41, v50, 0x3f62ad3f, v44
	v_mul_f32_e32 v46, 0xbf52af12, v87
	v_add_f32_e32 v27, v43, v27
	v_add_f32_e32 v26, v40, v26
	;; [unrolled: 1-line block ×3, first 2 shown]
	v_fma_f32 v111, 0xbf788fa5, v80, -v145
	v_fma_f32 v154, 0xbeb58ec6, v84, -v152
	v_fmamk_f32 v155, v50, 0xbf788fa5, v153
	v_mul_f32_e32 v156, 0x3eedf032, v87
	v_mul_f32_e32 v117, 0xbf52af12, v53
	v_add_f32_e32 v48, v111, v48
	v_fma_f32 v111, 0x3f62ad3f, v82, -v149
	v_add_f32_e32 v128, v24, v128
	v_fmac_f32_e32 v131, 0xbf788fa5, v51
	v_add_f32_e32 v40, v24, v41
	v_fmamk_f32 v41, v51, 0x3f116cb1, v46
	v_add_f32_e32 v48, v111, v48
	v_mul_f32_e32 v43, 0xbf7e222b, v88
	v_add_f32_e32 v27, v37, v27
	v_add_f32_e32 v26, v42, v26
	v_mul_f32_e32 v140, 0x3eedf032, v83
	v_add_f32_e32 v48, v154, v48
	v_add_f32_e32 v154, v24, v155
	v_fmamk_f32 v155, v51, 0x3f62ad3f, v156
	v_mul_f32_e32 v157, 0xbf29c268, v88
	v_mul_f32_e32 v119, 0xbf6f5d39, v52
	v_sub_f32_e32 v101, v101, v117
	v_add_f32_e32 v117, v131, v128
	v_fmac_f32_e32 v133, 0xbeb58ec6, v54
	v_add_f32_e32 v40, v41, v40
	v_fmamk_f32 v41, v54, 0x3df6dbef, v43
	v_add_f32_e32 v27, v39, v27
	v_add_f32_e32 v26, v36, v26
	v_mul_f32_e32 v36, 0xbf6f5d39, v89
	v_fmamk_f32 v143, v94, 0x3f62ad3f, v140
	v_mul_f32_e32 v144, 0xbf788fa5, v95
	v_fma_f32 v110, 0xbf3f9e67, v95, -v110
	v_add_f32_e32 v154, v155, v154
	v_fmamk_f32 v155, v54, 0xbf3f9e67, v157
	v_mul_f32_e32 v158, 0x3f52af12, v89
	v_mul_f32_e32 v116, 0x3f116cb1, v50
	;; [unrolled: 1-line block ×3, first 2 shown]
	v_add_f32_e32 v128, v25, v101
	v_sub_f32_e32 v103, v103, v119
	v_add_f32_e32 v117, v133, v117
	v_fmac_f32_e32 v135, 0x3f62ad3f, v80
	v_add_f32_e32 v40, v41, v40
	v_add_f32_e32 v33, v33, v27
	;; [unrolled: 1-line block ×3, first 2 shown]
	v_fmamk_f32 v38, v80, 0xbeb58ec6, v36
	v_mul_f32_e32 v41, 0xbf29c268, v90
	v_add_f32_e32 v49, v143, v49
	v_mul_f32_e32 v143, 0xbf6f5d39, v85
	v_fmamk_f32 v147, v53, 0x3e750f2a, v144
	v_mul_f32_e32 v148, 0x3f62ad3f, v96
	v_add_f32_e32 v110, v25, v110
	v_fma_f32 v112, 0x3df6dbef, v96, -v112
	v_add_f32_e32 v154, v155, v154
	v_fmamk_f32 v155, v80, 0x3f116cb1, v158
	v_mul_f32_e32 v160, 0xbf6f5d39, v90
	v_mul_f32_e32 v118, 0xbeb58ec6, v51
	;; [unrolled: 1-line block ×3, first 2 shown]
	v_add_f32_e32 v98, v116, v98
	v_add_f32_e32 v103, v103, v128
	v_sub_f32_e32 v104, v104, v122
	v_add_f32_e32 v116, v135, v117
	v_fmac_f32_e32 v136, 0x3f116cb1, v82
	v_add_f32_e32 v33, v35, v33
	v_add_f32_e32 v26, v32, v26
	;; [unrolled: 1-line block ×3, first 2 shown]
	v_fmamk_f32 v35, v82, 0xbf3f9e67, v41
	v_mul_f32_e32 v38, 0xbe750f2a, v91
	v_fmamk_f32 v146, v92, 0xbeb58ec6, v143
	v_add_f32_e32 v147, v25, v147
	v_fmamk_f32 v150, v52, 0xbeedf032, v148
	v_mul_f32_e32 v151, 0xbf3f9e67, v97
	v_add_f32_e32 v110, v112, v110
	v_fma_f32 v112, 0x3f116cb1, v97, -v137
	v_add_f32_e32 v137, v155, v154
	v_fmamk_f32 v154, v82, 0xbeb58ec6, v160
	v_fmac_f32_e32 v139, 0xbf3f9e67, v50
	v_mul_f32_e32 v120, 0xbf788fa5, v54
	v_mul_f32_e32 v127, 0x3f7e222b, v83
	;; [unrolled: 1-line block ×3, first 2 shown]
	v_add_f32_e32 v98, v24, v98
	v_add_f32_e32 v99, v118, v99
	;; [unrolled: 1-line block ×3, first 2 shown]
	v_sub_f32_e32 v104, v106, v124
	v_add_f32_e32 v106, v136, v116
	v_fmac_f32_e32 v138, 0xbf3f9e67, v84
	v_add_f32_e32 v29, v29, v33
	v_add_f32_e32 v26, v34, v26
	v_fmac_f32_e32 v144, 0xbe750f2a, v53
	v_add_f32_e32 v32, v35, v32
	v_fmamk_f32 v33, v84, 0xbf788fa5, v38
	v_add_f32_e32 v49, v146, v49
	v_add_f32_e32 v146, v150, v147
	v_fmamk_f32 v147, v55, 0x3f29c268, v151
	v_mul_f32_e32 v150, 0x3f116cb1, v93
	v_add_f32_e32 v110, v112, v110
	v_fma_f32 v112, 0xbf788fa5, v93, -v113
	v_add_f32_e32 v113, v154, v137
	v_add_f32_e32 v137, v24, v139
	v_fmac_f32_e32 v142, 0x3df6dbef, v51
	v_mul_f32_e32 v123, 0xbf3f9e67, v80
	v_mul_f32_e32 v132, 0x3eedf032, v85
	v_fmamk_f32 v139, v84, 0x3df6dbef, v155
	v_mul_f32_e32 v154, 0xbeb58ec6, v95
	v_fma_f32 v114, 0x3df6dbef, v95, -v114
	v_add_f32_e32 v98, v99, v98
	v_add_f32_e32 v99, v120, v100
	;; [unrolled: 1-line block ×3, first 2 shown]
	v_sub_f32_e32 v104, v108, v127
	v_add_f32_e32 v100, v138, v106
	v_mul_f32_e32 v106, 0x3f62ad3f, v95
	v_add_f32_e32 v29, v31, v29
	v_add_f32_e32 v28, v28, v26
	;; [unrolled: 1-line block ×3, first 2 shown]
	v_fmac_f32_e32 v148, 0x3eedf032, v52
	v_add_f32_e32 v26, v33, v32
	v_fma_f32 v32, 0xbf788fa5, v50, -v153
	v_add_f32_e32 v111, v147, v146
	v_fmamk_f32 v146, v81, 0xbf52af12, v150
	v_mul_f32_e32 v147, 0xbeb58ec6, v94
	v_add_f32_e32 v137, v142, v137
	v_fmac_f32_e32 v141, 0x3f116cb1, v54
	v_mul_f32_e32 v126, 0x3df6dbef, v82
	v_add_f32_e32 v112, v112, v110
	v_fma_f32 v140, 0x3f62ad3f, v94, -v140
	v_add_f32_e32 v110, v139, v113
	v_fmamk_f32 v113, v53, 0x3f6f5d39, v154
	v_mul_f32_e32 v139, 0xbf3f9e67, v96
	v_add_f32_e32 v114, v25, v114
	v_fma_f32 v164, 0xbf788fa5, v96, -v115
	v_add_f32_e32 v95, v99, v98
	v_add_f32_e32 v98, v123, v102
	;; [unrolled: 1-line block ×3, first 2 shown]
	v_sub_f32_e32 v102, v109, v132
	v_fmamk_f32 v103, v53, 0x3eedf032, v106
	v_mul_f32_e32 v104, 0x3f116cb1, v96
	v_add_f32_e32 v28, v30, v28
	v_add_f32_e32 v30, v148, v31
	v_fmac_f32_e32 v151, 0xbf29c268, v55
	v_add_f32_e32 v31, v24, v32
	v_fma_f32 v32, 0x3f62ad3f, v51, -v156
	v_fmac_f32_e32 v154, 0xbf6f5d39, v53
	v_add_f32_e32 v111, v146, v111
	v_fmamk_f32 v146, v83, 0x3f6f5d39, v147
	v_add_f32_e32 v137, v141, v137
	v_fmac_f32_e32 v145, 0xbf788fa5, v80
	v_mul_f32_e32 v130, 0x3f62ad3f, v84
	v_add_f32_e32 v112, v140, v112
	v_add_f32_e32 v113, v25, v113
	v_fmamk_f32 v140, v52, 0xbf29c268, v139
	v_mul_f32_e32 v141, 0x3f62ad3f, v97
	v_add_f32_e32 v114, v164, v114
	v_fma_f32 v121, 0xbeb58ec6, v97, -v121
	v_add_f32_e32 v95, v98, v95
	v_add_f32_e32 v98, v126, v105
	;; [unrolled: 1-line block ×4, first 2 shown]
	v_fmamk_f32 v102, v52, 0x3f52af12, v104
	v_mul_f32_e32 v97, 0x3df6dbef, v97
	v_add_f32_e32 v30, v151, v30
	v_fmac_f32_e32 v150, 0x3f52af12, v81
	v_add_f32_e32 v31, v32, v31
	v_fma_f32 v32, 0xbf3f9e67, v54, -v157
	v_add_f32_e32 v33, v25, v154
	v_fmac_f32_e32 v139, 0x3f29c268, v52
	v_add_f32_e32 v111, v146, v111
	v_mul_f32_e32 v146, 0x3df6dbef, v92
	v_fma_f32 v142, 0xbeb58ec6, v92, -v143
	v_add_f32_e32 v137, v145, v137
	v_fmac_f32_e32 v149, 0x3f62ad3f, v82
	v_add_f32_e32 v140, v140, v113
	v_fmamk_f32 v143, v55, 0xbeedf032, v141
	v_mul_f32_e32 v145, 0x3df6dbef, v93
	v_add_f32_e32 v114, v121, v114
	v_fma_f32 v121, 0x3f62ad3f, v93, -v125
	v_add_f32_e32 v95, v98, v95
	v_add_f32_e32 v98, v130, v107
	;; [unrolled: 1-line block ×3, first 2 shown]
	v_fmamk_f32 v102, v55, 0x3f7e222b, v97
	v_mul_f32_e32 v93, 0xbeb58ec6, v93
	v_add_f32_e32 v30, v150, v30
	v_fmac_f32_e32 v147, 0xbf6f5d39, v83
	v_add_f32_e32 v31, v32, v31
	v_fma_f32 v32, 0x3f116cb1, v80, -v158
	v_add_f32_e32 v33, v139, v33
	v_fmac_f32_e32 v141, 0x3eedf032, v55
	v_fmamk_f32 v159, v85, 0xbf7e222b, v146
	v_add_f32_e32 v113, v142, v112
	v_add_f32_e32 v112, v149, v137
	v_mul_f32_e32 v137, 0xbf6f5d39, v86
	v_add_f32_e32 v140, v143, v140
	v_mul_f32_e32 v143, 0xbf788fa5, v94
	v_fma_f32 v129, 0x3f116cb1, v94, -v129
	v_add_f32_e32 v95, v98, v95
	v_add_f32_e32 v45, v102, v99
	v_fmamk_f32 v98, v81, 0x3f6f5d39, v93
	v_mul_f32_e32 v94, 0xbf3f9e67, v94
	v_fmamk_f32 v142, v81, 0x3f7e222b, v145
	v_add_f32_e32 v30, v147, v30
	v_fmac_f32_e32 v146, 0x3f7e222b, v85
	v_add_f32_e32 v32, v32, v31
	v_fma_f32 v34, 0xbeb58ec6, v82, -v160
	v_add_f32_e32 v33, v141, v33
	v_fmac_f32_e32 v145, 0xbf7e222b, v81
	v_add_f32_e32 v111, v159, v111
	v_fmac_f32_e32 v152, 0xbeb58ec6, v84
	v_fmamk_f32 v149, v50, 0xbeb58ec6, v137
	v_mul_f32_e32 v159, 0x3f29c268, v87
	v_add_f32_e32 v45, v98, v45
	v_fmamk_f32 v47, v83, 0x3f29c268, v94
	v_mul_f32_e32 v37, 0xbf788fa5, v92
	v_add_f32_e32 v140, v142, v140
	v_fmamk_f32 v142, v83, 0xbe750f2a, v143
	v_add_f32_e32 v31, v146, v30
	v_fma_f32 v30, 0xbeb58ec6, v50, -v137
	v_add_f32_e32 v32, v34, v32
	v_fma_f32 v34, 0x3df6dbef, v84, -v155
	v_add_f32_e32 v33, v145, v33
	v_fmac_f32_e32 v143, 0x3e750f2a, v83
	v_add_f32_e32 v112, v152, v112
	v_add_f32_e32 v149, v24, v149
	v_fmamk_f32 v152, v51, 0xbf3f9e67, v159
	v_mul_f32_e32 v161, 0x3eedf032, v88
	v_add_f32_e32 v45, v47, v45
	v_fmamk_f32 v39, v85, 0x3e750f2a, v37
	v_add_f32_e32 v35, v24, v30
	v_add_f32_e32 v30, v34, v32
	v_fmac_f32_e32 v106, 0xbeedf032, v53
	v_add_f32_e32 v32, v143, v33
	v_fma_f32 v33, 0x3f62ad3f, v50, -v44
	v_add_f32_e32 v140, v142, v140
	v_mul_f32_e32 v142, 0x3f116cb1, v92
	v_add_f32_e32 v149, v152, v149
	v_fmamk_f32 v152, v54, 0x3f62ad3f, v161
	v_mul_f32_e32 v162, 0xbf7e222b, v89
	v_add_f32_e32 v27, v39, v45
	v_fma_f32 v39, 0xbf3f9e67, v51, -v159
	v_add_f32_e32 v25, v25, v106
	v_fmac_f32_e32 v104, 0xbf52af12, v52
	v_add_f32_e32 v24, v24, v33
	v_fma_f32 v33, 0x3f116cb1, v51, -v46
	v_fmamk_f32 v163, v85, 0xbf52af12, v142
	v_add_f32_e32 v149, v152, v149
	v_fmamk_f32 v152, v80, 0x3df6dbef, v162
	v_mul_f32_e32 v165, 0x3e750f2a, v90
	v_add_f32_e32 v34, v39, v35
	v_fma_f32 v35, 0x3f62ad3f, v54, -v161
	v_add_f32_e32 v25, v104, v25
	v_fmac_f32_e32 v97, 0xbf7e222b, v55
	v_add_f32_e32 v24, v33, v24
	v_fma_f32 v33, 0x3df6dbef, v54, -v43
	v_add_f32_e32 v115, v163, v140
	v_add_f32_e32 v140, v152, v149
	v_fmamk_f32 v149, v82, 0xbf788fa5, v165
	v_mul_f32_e32 v152, 0x3f52af12, v91
	v_add_f32_e32 v34, v35, v34
	v_fma_f32 v35, 0x3df6dbef, v80, -v162
	v_add_f32_e32 v25, v97, v25
	v_fmac_f32_e32 v93, 0xbf6f5d39, v81
	v_add_f32_e32 v24, v33, v24
	v_fma_f32 v33, 0xbeb58ec6, v80, -v36
	v_add_f32_e32 v125, v149, v140
	v_fmamk_f32 v140, v84, 0x3f116cb1, v152
	v_add_f32_e32 v121, v121, v114
	v_add_f32_e32 v34, v35, v34
	v_fma_f32 v35, 0xbf788fa5, v82, -v165
	v_add_f32_e32 v25, v93, v25
	v_fmac_f32_e32 v94, 0xbf29c268, v83
	v_add_f32_e32 v24, v33, v24
	v_fma_f32 v33, 0xbf3f9e67, v82, -v41
	v_and_b32_e32 v36, 0xffff, v75
	v_add_f32_e32 v114, v140, v125
	v_add_f32_e32 v121, v129, v121
	v_fma_f32 v125, 0xbf3f9e67, v92, -v134
	v_fmac_f32_e32 v142, 0x3f52af12, v85
	v_add_f32_e32 v34, v35, v34
	v_fma_f32 v35, 0x3f116cb1, v84, -v152
	v_add_f32_e32 v29, v58, v29
	v_add_f32_e32 v28, v57, v28
	;; [unrolled: 1-line block ×3, first 2 shown]
	v_fmac_f32_e32 v37, 0xbe750f2a, v85
	v_add_f32_e32 v40, v33, v24
	v_fma_f32 v38, 0xbf788fa5, v84, -v38
	v_lshl_add_u32 v36, v36, 3, v74
	v_add_f32_e32 v101, v125, v121
	v_add_f32_e32 v25, v142, v32
	;; [unrolled: 1-line block ×5, first 2 shown]
	ds_write2_b64 v36, v[28:29], v[26:27] offset1:1
	ds_write2_b64 v36, v[95:96], v[100:101] offset0:2 offset1:3
	ds_write2_b64 v36, v[114:115], v[112:113] offset0:4 offset1:5
	ds_write2_b64 v36, v[110:111], v[30:31] offset0:6 offset1:7
	ds_write2_b64 v36, v[48:49], v[24:25] offset0:8 offset1:9
	ds_write2_b64 v36, v[22:23], v[20:21] offset0:10 offset1:11
	ds_write_b64 v36, v[32:33] offset:96
.LBB0_17:
	s_or_b32 exec_lo, exec_lo, s1
	s_waitcnt lgkmcnt(0)
	s_barrier
	buffer_gl0_inv
	ds_read2_b64 v[22:25], v76 offset1:26
	ds_read2_b64 v[26:29], v76 offset0:52 offset1:78
	ds_read2_b64 v[30:33], v76 offset0:104 offset1:130
	;; [unrolled: 1-line block ×4, first 2 shown]
	ds_read_b64 v[42:43], v76 offset:2080
	s_waitcnt lgkmcnt(0)
	s_barrier
	buffer_gl0_inv
	v_mul_f32_e32 v44, v17, v25
	v_mul_f32_e32 v17, v17, v24
	;; [unrolled: 1-line block ×5, first 2 shown]
	v_fmac_f32_e32 v44, v16, v24
	v_fma_f32 v16, v16, v25, -v17
	v_mul_f32_e32 v9, v9, v28
	v_fmac_f32_e32 v45, v18, v26
	v_fma_f32 v17, v18, v27, -v19
	v_add_f32_e32 v18, v22, v44
	v_add_f32_e32 v19, v23, v16
	v_mul_f32_e32 v47, v11, v31
	v_mul_f32_e32 v11, v11, v30
	v_fmac_f32_e32 v46, v8, v28
	v_fma_f32 v8, v8, v29, -v9
	v_add_f32_e32 v9, v18, v45
	v_add_f32_e32 v18, v19, v17
	v_mul_f32_e32 v48, v5, v33
	;; [unrolled: 6-line block ×4, first 2 shown]
	v_mul_f32_e32 v1, v1, v36
	v_fmac_f32_e32 v49, v6, v34
	v_fma_f32 v6, v6, v35, -v7
	v_add_f32_e32 v7, v9, v4
	v_mul_f32_e32 v51, v3, v39
	v_mul_f32_e32 v3, v3, v38
	v_add_f32_e32 v5, v5, v48
	v_fma_f32 v9, v0, v37, -v1
	v_add_f32_e32 v1, v7, v6
	v_mul_f32_e32 v24, v13, v41
	v_mul_f32_e32 v13, v13, v40
	;; [unrolled: 1-line block ×3, first 2 shown]
	v_fmac_f32_e32 v50, v0, v36
	v_fmac_f32_e32 v51, v2, v38
	v_add_f32_e32 v0, v5, v49
	v_fma_f32 v2, v2, v39, -v3
	v_add_f32_e32 v1, v1, v9
	v_mul_f32_e32 v18, v15, v43
	v_fma_f32 v3, v14, v43, -v11
	v_add_f32_e32 v0, v0, v50
	v_fma_f32 v5, v12, v41, -v13
	v_add_f32_e32 v1, v1, v2
	v_fmac_f32_e32 v24, v12, v40
	v_fmac_f32_e32 v18, v14, v42
	v_sub_f32_e32 v7, v16, v3
	v_add_f32_e32 v0, v0, v51
	v_add_f32_e32 v12, v16, v3
	;; [unrolled: 1-line block ×4, first 2 shown]
	v_mul_f32_e32 v13, 0xbf0a6770, v7
	v_add_f32_e32 v0, v0, v24
	v_sub_f32_e32 v14, v44, v18
	v_mul_f32_e32 v15, 0x3f575c64, v12
	v_add_f32_e32 v1, v1, v3
	v_mul_f32_e32 v3, 0xbf68dda4, v7
	v_mul_f32_e32 v25, 0x3ed4b147, v12
	;; [unrolled: 1-line block ×8, first 2 shown]
	v_sub_f32_e32 v36, v17, v5
	v_add_f32_e32 v5, v17, v5
	v_fmamk_f32 v16, v11, 0x3f575c64, v13
	v_add_f32_e32 v0, v0, v18
	v_fmamk_f32 v18, v14, 0x3f0a6770, v15
	v_fma_f32 v13, 0x3f575c64, v11, -v13
	v_fmac_f32_e32 v15, 0xbf0a6770, v14
	v_fmamk_f32 v19, v11, 0x3ed4b147, v3
	v_fmamk_f32 v27, v14, 0x3f68dda4, v25
	v_fma_f32 v3, 0x3ed4b147, v11, -v3
	v_fmac_f32_e32 v25, 0xbf68dda4, v14
	v_fmamk_f32 v29, v11, 0xbe11bafb, v26
	;; [unrolled: 4-line block ×4, first 2 shown]
	v_fmamk_f32 v37, v14, 0x3e903f40, v12
	v_fma_f32 v7, 0xbf75a155, v11, -v7
	v_add_f32_e32 v11, v45, v24
	v_mul_f32_e32 v17, 0xbf68dda4, v36
	v_fmac_f32_e32 v12, 0xbe903f40, v14
	v_sub_f32_e32 v14, v45, v24
	v_mul_f32_e32 v24, 0x3ed4b147, v5
	v_add_f32_e32 v16, v22, v16
	v_add_f32_e32 v18, v23, v18
	;; [unrolled: 1-line block ×18, first 2 shown]
	v_fmamk_f32 v38, v11, 0x3ed4b147, v17
	v_add_f32_e32 v7, v22, v7
	v_add_f32_e32 v12, v23, v12
	v_fmamk_f32 v22, v14, 0x3f68dda4, v24
	v_mul_f32_e32 v23, 0xbf4178ce, v36
	v_add_f32_e32 v16, v38, v16
	v_fma_f32 v17, 0x3ed4b147, v11, -v17
	v_mul_f32_e32 v38, 0xbf27a4f4, v5
	v_add_f32_e32 v18, v22, v18
	v_fmamk_f32 v22, v11, 0xbf27a4f4, v23
	v_fmac_f32_e32 v24, 0xbf68dda4, v14
	v_add_f32_e32 v13, v17, v13
	v_mul_f32_e32 v17, 0x3e903f40, v36
	v_fma_f32 v23, 0xbf27a4f4, v11, -v23
	v_add_f32_e32 v19, v22, v19
	v_fmamk_f32 v22, v14, 0x3f4178ce, v38
	v_fmac_f32_e32 v38, 0xbf4178ce, v14
	v_mul_f32_e32 v39, 0xbf75a155, v5
	v_add_f32_e32 v15, v24, v15
	v_fmamk_f32 v24, v11, 0xbf75a155, v17
	v_add_f32_e32 v22, v22, v27
	v_add_f32_e32 v3, v23, v3
	;; [unrolled: 1-line block ×3, first 2 shown]
	v_fmamk_f32 v25, v14, 0xbe903f40, v39
	v_mul_f32_e32 v27, 0x3f7d64f0, v36
	v_add_f32_e32 v24, v24, v29
	v_fma_f32 v17, 0xbf75a155, v11, -v17
	v_mul_f32_e32 v29, 0xbe11bafb, v5
	v_add_f32_e32 v25, v25, v30
	v_fmamk_f32 v30, v11, 0xbe11bafb, v27
	v_mul_f32_e32 v36, 0x3f0a6770, v36
	v_fma_f32 v27, 0xbe11bafb, v11, -v27
	v_add_f32_e32 v17, v17, v26
	v_fmamk_f32 v26, v14, 0xbf7d64f0, v29
	v_add_f32_e32 v30, v30, v33
	v_fmac_f32_e32 v29, 0x3f7d64f0, v14
	v_fmamk_f32 v33, v11, 0x3f575c64, v36
	v_add_f32_e32 v27, v27, v31
	v_sub_f32_e32 v31, v8, v2
	v_add_f32_e32 v26, v26, v34
	v_mul_f32_e32 v5, 0x3f575c64, v5
	v_add_f32_e32 v29, v29, v32
	v_add_f32_e32 v32, v33, v35
	v_add_f32_e32 v34, v46, v51
	v_mul_f32_e32 v35, 0xbf7d64f0, v31
	v_add_f32_e32 v2, v8, v2
	v_fmac_f32_e32 v39, 0x3e903f40, v14
	v_fmamk_f32 v33, v14, 0xbf0a6770, v5
	v_fma_f32 v8, 0x3f575c64, v11, -v36
	v_fmac_f32_e32 v5, 0x3f0a6770, v14
	v_sub_f32_e32 v11, v46, v51
	v_fmamk_f32 v14, v34, 0xbe11bafb, v35
	v_mul_f32_e32 v36, 0xbe11bafb, v2
	v_add_f32_e32 v7, v8, v7
	v_add_f32_e32 v5, v5, v12
	;; [unrolled: 1-line block ×4, first 2 shown]
	v_fmamk_f32 v12, v11, 0x3f7d64f0, v36
	v_mul_f32_e32 v14, 0x3e903f40, v31
	v_fma_f32 v16, 0xbe11bafb, v34, -v35
	v_fmac_f32_e32 v36, 0xbf7d64f0, v11
	v_mul_f32_e32 v35, 0xbf75a155, v2
	v_add_f32_e32 v12, v12, v18
	v_fmamk_f32 v18, v34, 0xbf75a155, v14
	v_add_f32_e32 v13, v16, v13
	v_add_f32_e32 v15, v36, v15
	v_fmamk_f32 v16, v11, 0xbe903f40, v35
	v_mul_f32_e32 v36, 0x3f68dda4, v31
	v_fma_f32 v14, 0xbf75a155, v34, -v14
	v_fmac_f32_e32 v35, 0x3e903f40, v11
	v_add_f32_e32 v18, v18, v19
	v_add_f32_e32 v16, v16, v22
	v_fmamk_f32 v19, v34, 0x3ed4b147, v36
	v_mul_f32_e32 v22, 0x3ed4b147, v2
	v_add_f32_e32 v3, v14, v3
	v_add_f32_e32 v14, v35, v23
	v_mul_f32_e32 v23, 0xbf0a6770, v31
	v_add_f32_e32 v33, v33, v37
	v_add_f32_e32 v19, v19, v24
	v_fmamk_f32 v24, v11, 0xbf68dda4, v22
	v_fma_f32 v35, 0x3ed4b147, v34, -v36
	v_fmac_f32_e32 v22, 0x3f68dda4, v11
	v_fmamk_f32 v36, v34, 0x3f575c64, v23
	v_mul_f32_e32 v37, 0x3f575c64, v2
	v_add_f32_e32 v24, v24, v25
	v_mul_f32_e32 v2, 0xbf27a4f4, v2
	v_add_f32_e32 v22, v22, v28
	v_add_f32_e32 v25, v36, v30
	v_fmamk_f32 v28, v11, 0x3f0a6770, v37
	v_mul_f32_e32 v30, 0xbf4178ce, v31
	v_fma_f32 v23, 0x3f575c64, v34, -v23
	v_fmac_f32_e32 v37, 0xbf0a6770, v11
	v_fmamk_f32 v31, v11, 0x3f4178ce, v2
	v_add_f32_e32 v26, v28, v26
	v_fmamk_f32 v28, v34, 0xbf27a4f4, v30
	v_add_f32_e32 v23, v23, v27
	v_add_f32_e32 v27, v37, v29
	v_sub_f32_e32 v29, v10, v9
	v_add_f32_e32 v9, v10, v9
	v_add_f32_e32 v28, v28, v32
	;; [unrolled: 1-line block ×4, first 2 shown]
	v_mul_f32_e32 v10, 0xbf4178ce, v29
	v_fma_f32 v30, 0xbf27a4f4, v34, -v30
	v_fmac_f32_e32 v2, 0xbf4178ce, v11
	v_sub_f32_e32 v11, v47, v50
	v_mul_f32_e32 v33, 0xbf27a4f4, v9
	v_fmamk_f32 v34, v32, 0xbf27a4f4, v10
	v_add_f32_e32 v7, v30, v7
	v_add_f32_e32 v2, v2, v5
	v_mul_f32_e32 v5, 0x3f7d64f0, v29
	v_fmamk_f32 v30, v11, 0x3f4178ce, v33
	v_add_f32_e32 v8, v34, v8
	v_fma_f32 v10, 0xbf27a4f4, v32, -v10
	v_fmac_f32_e32 v33, 0xbf4178ce, v11
	v_fmamk_f32 v34, v32, 0xbe11bafb, v5
	v_add_f32_e32 v12, v30, v12
	v_mul_f32_e32 v30, 0xbe11bafb, v9
	v_add_f32_e32 v10, v10, v13
	v_add_f32_e32 v13, v33, v15
	;; [unrolled: 1-line block ×3, first 2 shown]
	v_fma_f32 v5, 0xbe11bafb, v32, -v5
	v_fmamk_f32 v33, v11, 0xbf7d64f0, v30
	v_mul_f32_e32 v34, 0x3f575c64, v9
	v_mul_f32_e32 v18, 0xbf0a6770, v29
	v_add_f32_e32 v17, v35, v17
	v_fmac_f32_e32 v30, 0x3f7d64f0, v11
	v_add_f32_e32 v16, v33, v16
	v_add_f32_e32 v33, v5, v3
	v_fmamk_f32 v3, v11, 0x3f0a6770, v34
	v_fmamk_f32 v35, v32, 0x3f575c64, v18
	v_mul_f32_e32 v5, 0xbe903f40, v29
	v_fma_f32 v18, 0x3f575c64, v32, -v18
	v_add_f32_e32 v14, v30, v14
	v_add_f32_e32 v24, v3, v24
	v_mul_f32_e32 v3, 0xbf75a155, v9
	v_add_f32_e32 v30, v35, v19
	v_fmamk_f32 v19, v32, 0xbf75a155, v5
	v_add_f32_e32 v17, v18, v17
	v_mul_f32_e32 v18, 0x3f68dda4, v29
	v_fmamk_f32 v29, v11, 0x3e903f40, v3
	v_fma_f32 v5, 0xbf75a155, v32, -v5
	v_fmac_f32_e32 v34, 0xbf0a6770, v11
	v_add_f32_e32 v25, v19, v25
	v_fmac_f32_e32 v3, 0xbe903f40, v11
	v_fmamk_f32 v19, v32, 0x3ed4b147, v18
	v_add_f32_e32 v26, v29, v26
	v_mul_f32_e32 v9, 0x3ed4b147, v9
	v_add_f32_e32 v23, v5, v23
	v_sub_f32_e32 v29, v4, v6
	v_fma_f32 v5, 0x3ed4b147, v32, -v18
	v_add_f32_e32 v32, v4, v6
	v_add_f32_e32 v22, v34, v22
	;; [unrolled: 1-line block ×3, first 2 shown]
	v_fmamk_f32 v3, v11, 0xbf68dda4, v9
	v_add_f32_e32 v34, v48, v49
	v_mul_f32_e32 v4, 0xbe903f40, v29
	v_sub_f32_e32 v35, v48, v49
	v_mul_f32_e32 v6, 0xbf75a155, v32
	v_fmac_f32_e32 v9, 0x3f68dda4, v11
	v_add_f32_e32 v31, v3, v31
	v_fmamk_f32 v3, v34, 0xbf75a155, v4
	v_add_f32_e32 v36, v5, v7
	v_fmamk_f32 v5, v35, 0x3e903f40, v6
	v_mul_f32_e32 v7, 0x3f0a6770, v29
	v_add_f32_e32 v37, v9, v2
	v_add_f32_e32 v2, v3, v8
	v_fma_f32 v4, 0xbf75a155, v34, -v4
	v_add_f32_e32 v3, v5, v12
	v_fmamk_f32 v5, v34, 0x3f575c64, v7
	v_mul_f32_e32 v8, 0x3f575c64, v32
	v_mul_f32_e32 v9, 0xbf4178ce, v29
	v_fmac_f32_e32 v6, 0xbe903f40, v35
	v_add_f32_e32 v18, v4, v10
	v_add_f32_e32 v4, v5, v15
	v_fmamk_f32 v5, v35, 0xbf0a6770, v8
	v_fmac_f32_e32 v8, 0x3f0a6770, v35
	v_fmamk_f32 v10, v34, 0xbf27a4f4, v9
	v_mul_f32_e32 v11, 0xbf27a4f4, v32
	v_add_f32_e32 v28, v19, v28
	v_add_f32_e32 v19, v6, v13
	v_fma_f32 v6, 0x3f575c64, v34, -v7
	v_add_f32_e32 v7, v8, v14
	v_add_f32_e32 v8, v10, v30
	v_fmamk_f32 v10, v35, 0x3f4178ce, v11
	v_mul_f32_e32 v12, 0x3f68dda4, v29
	v_fma_f32 v13, 0xbf27a4f4, v34, -v9
	v_add_f32_e32 v5, v5, v16
	v_fmac_f32_e32 v11, 0xbf4178ce, v35
	v_mul_f32_e32 v15, 0x3ed4b147, v32
	v_add_f32_e32 v9, v10, v24
	v_fmamk_f32 v14, v34, 0x3ed4b147, v12
	v_add_f32_e32 v10, v13, v17
	v_fma_f32 v16, 0x3ed4b147, v34, -v12
	v_mul_f32_e32 v17, 0xbf7d64f0, v29
	v_mul_f32_e32 v24, 0xbe11bafb, v32
	v_add_f32_e32 v11, v11, v22
	v_fmamk_f32 v13, v35, 0xbf68dda4, v15
	v_add_f32_e32 v12, v14, v25
	v_add_f32_e32 v14, v16, v23
	v_fmamk_f32 v16, v34, 0xbe11bafb, v17
	v_fmamk_f32 v22, v35, 0x3f7d64f0, v24
	v_fmac_f32_e32 v15, 0x3f68dda4, v35
	v_fma_f32 v23, 0xbe11bafb, v34, -v17
	v_fmac_f32_e32 v24, 0xbf7d64f0, v35
	v_add_f32_e32 v13, v13, v26
	v_add_f32_e32 v16, v16, v28
	;; [unrolled: 1-line block ×7, first 2 shown]
	ds_write2_b64 v77, v[0:1], v[2:3] offset1:13
	ds_write2_b64 v77, v[4:5], v[8:9] offset0:26 offset1:39
	ds_write2_b64 v77, v[12:13], v[16:17] offset0:52 offset1:65
	;; [unrolled: 1-line block ×4, first 2 shown]
	ds_write_b64 v77, v[18:19] offset:1040
	s_waitcnt lgkmcnt(0)
	s_barrier
	buffer_gl0_inv
	ds_read2_b64 v[8:11], v76 offset1:26
	ds_read2_b64 v[0:3], v76 offset0:104 offset1:143
	ds_read2_b64 v[22:25], v76 offset0:169 offset1:195
	;; [unrolled: 1-line block ×4, first 2 shown]
	v_add_nc_u32_e32 v16, 0x340, v79
	s_and_saveexec_b32 s1, s0
	s_cbranch_execz .LBB0_19
; %bb.18:
	v_add_nc_u32_e32 v17, 0x400, v76
	ds_read2_b64 v[18:21], v17 offset0:2 offset1:145
.LBB0_19:
	s_or_b32 exec_lo, exec_lo, s1
	s_waitcnt lgkmcnt(3)
	v_mul_f32_e32 v17, v66, v3
	s_waitcnt lgkmcnt(2)
	v_mul_f32_e32 v27, v70, v23
	v_mul_f32_e32 v28, v70, v22
	;; [unrolled: 1-line block ×4, first 2 shown]
	v_fmac_f32_e32 v17, v65, v2
	v_fmac_f32_e32 v27, v69, v22
	v_fma_f32 v22, v69, v23, -v28
	v_mul_f32_e32 v2, v62, v24
	v_fmac_f32_e32 v29, v61, v24
	s_waitcnt lgkmcnt(0)
	v_mul_f32_e32 v23, v64, v13
	v_mul_f32_e32 v24, v64, v12
	v_fma_f32 v3, v65, v3, -v26
	v_mul_f32_e32 v26, v68, v15
	v_mul_f32_e32 v28, v68, v14
	v_fma_f32 v25, v61, v25, -v2
	v_fmac_f32_e32 v23, v63, v12
	v_fma_f32 v24, v63, v13, -v24
	v_fmac_f32_e32 v26, v67, v14
	v_sub_f32_e32 v2, v8, v17
	v_fma_f32 v17, v67, v15, -v28
	v_sub_f32_e32 v3, v9, v3
	v_sub_f32_e32 v12, v10, v27
	;; [unrolled: 1-line block ×9, first 2 shown]
	v_fma_f32 v8, v8, 2.0, -v2
	v_fma_f32 v9, v9, 2.0, -v3
	;; [unrolled: 1-line block ×10, first 2 shown]
	ds_write2_b64 v78, v[8:9], v[10:11] offset1:26
	ds_write2_b64 v78, v[12:13], v[14:15] offset0:169 offset1:195
	ds_write2_b64 v78, v[4:5], v[6:7] offset0:52 offset1:78
	ds_write_b64 v78, v[22:23] offset:1768
	ds_write2_b64 v78, v[0:1], v[2:3] offset0:104 offset1:143
	ds_write_b64 v16, v[24:25] offset:1144
	s_and_saveexec_b32 s1, s0
	s_cbranch_execz .LBB0_21
; %bb.20:
	v_mul_f32_e32 v0, v60, v20
	v_mul_f32_e32 v2, v60, v21
	v_add_nc_u32_e32 v4, 0x400, v78
	v_fma_f32 v0, v59, v21, -v0
	v_fmac_f32_e32 v2, v59, v20
	v_sub_f32_e32 v1, v19, v0
	v_sub_f32_e32 v0, v18, v2
	v_fma_f32 v3, v19, 2.0, -v1
	v_fma_f32 v2, v18, 2.0, -v0
	ds_write2_b64 v4, v[2:3], v[0:1] offset0:2 offset1:145
.LBB0_21:
	s_or_b32 exec_lo, exec_lo, s1
	s_waitcnt lgkmcnt(0)
	s_barrier
	buffer_gl0_inv
	s_and_b32 exec_lo, exec_lo, vcc_lo
	s_cbranch_execz .LBB0_23
; %bb.22:
	s_clause 0xb
	global_load_dwordx2 v[24:25], v72, s[14:15]
	global_load_dwordx2 v[26:27], v72, s[14:15] offset:176
	global_load_dwordx2 v[28:29], v72, s[14:15] offset:352
	global_load_dwordx2 v[30:31], v72, s[14:15] offset:528
	global_load_dwordx2 v[32:33], v72, s[14:15] offset:704
	global_load_dwordx2 v[34:35], v72, s[14:15] offset:880
	global_load_dwordx2 v[36:37], v72, s[14:15] offset:1056
	global_load_dwordx2 v[38:39], v72, s[14:15] offset:1232
	global_load_dwordx2 v[40:41], v72, s[14:15] offset:1408
	global_load_dwordx2 v[42:43], v72, s[14:15] offset:1584
	global_load_dwordx2 v[44:45], v72, s[14:15] offset:1760
	global_load_dwordx2 v[46:47], v72, s[14:15] offset:1936
	v_mad_u64_u32 v[0:1], null, s6, v56, 0
	v_mad_u64_u32 v[2:3], null, s4, v73, 0
	v_lshl_add_u32 v20, v71, 3, v72
	ds_read_b64 v[48:49], v78
	v_add_co_u32 v70, s0, s14, v72
	s_mul_i32 s2, s5, 0xb0
	ds_read2_b64 v[8:11], v20 offset0:110 offset1:132
	v_mad_u64_u32 v[4:5], null, s7, v56, v[1:2]
	ds_read2_b64 v[12:15], v20 offset0:154 offset1:176
	ds_read2_b64 v[16:19], v20 offset0:198 offset1:220
	s_mul_hi_u32 s3, s4, 0xb0
	s_mulk_i32 s4, 0xb0
	s_add_i32 s3, s3, s2
	v_mad_u64_u32 v[5:6], null, s5, v73, v[3:4]
	v_mov_b32_e32 v1, v4
	v_add_co_ci_u32_e64 v73, null, s15, 0, s0
	s_mov_b32 s0, 0x55ee191
	s_mov_b32 s1, 0x3f6ca4b3
	v_lshlrev_b64 v[0:1], 3, v[0:1]
	v_mov_b32_e32 v3, v5
	ds_read2_b64 v[4:7], v20 offset0:66 offset1:88
	v_lshlrev_b64 v[2:3], 3, v[2:3]
	v_add_co_u32 v0, vcc_lo, s12, v0
	v_add_co_ci_u32_e32 v1, vcc_lo, s13, v1, vcc_lo
	v_add_co_u32 v50, vcc_lo, v0, v2
	v_add_co_ci_u32_e32 v51, vcc_lo, v1, v3, vcc_lo
	ds_read2_b64 v[0:3], v20 offset0:22 offset1:44
	v_add_nc_u32_e32 v20, 0x400, v20
	v_add_co_u32 v52, vcc_lo, v50, s4
	v_add_co_ci_u32_e32 v53, vcc_lo, s3, v51, vcc_lo
	ds_read2_b64 v[20:23], v20 offset0:114 offset1:136
	v_add_co_u32 v54, vcc_lo, v52, s4
	v_add_co_ci_u32_e32 v55, vcc_lo, s3, v53, vcc_lo
	v_add_co_u32 v56, vcc_lo, v54, s4
	v_add_co_ci_u32_e32 v57, vcc_lo, s3, v55, vcc_lo
	;; [unrolled: 2-line block ×8, first 2 shown]
	s_waitcnt vmcnt(11) lgkmcnt(6)
	v_mul_f32_e32 v71, v49, v25
	v_mul_f32_e32 v25, v48, v25
	s_waitcnt vmcnt(10) lgkmcnt(1)
	v_mul_f32_e32 v72, v1, v27
	v_mul_f32_e32 v27, v0, v27
	s_waitcnt vmcnt(9)
	v_mul_f32_e32 v74, v3, v29
	v_mul_f32_e32 v29, v2, v29
	s_waitcnt vmcnt(8)
	;; [unrolled: 3-line block ×4, first 2 shown]
	v_mul_f32_e32 v77, v9, v35
	v_mul_f32_e32 v35, v8, v35
	v_fmac_f32_e32 v71, v48, v24
	v_fma_f32 v24, v24, v49, -v25
	s_waitcnt vmcnt(5)
	v_mul_f32_e32 v78, v11, v37
	v_mul_f32_e32 v37, v10, v37
	v_fmac_f32_e32 v72, v0, v26
	v_fma_f32 v25, v26, v1, -v27
	s_waitcnt vmcnt(4)
	;; [unrolled: 5-line block ×4, first 2 shown]
	v_mul_f32_e32 v81, v17, v43
	v_mul_f32_e32 v43, v16, v43
	s_waitcnt vmcnt(1)
	v_mul_f32_e32 v82, v19, v45
	v_mul_f32_e32 v45, v18, v45
	v_fmac_f32_e32 v76, v6, v32
	v_fma_f32 v28, v32, v7, -v33
	s_waitcnt vmcnt(0) lgkmcnt(0)
	v_mul_f32_e32 v83, v21, v47
	v_mul_f32_e32 v47, v20, v47
	v_fmac_f32_e32 v77, v8, v34
	v_fma_f32 v29, v34, v9, -v35
	v_cvt_f64_f32_e32 v[0:1], v71
	v_cvt_f64_f32_e32 v[2:3], v24
	v_fmac_f32_e32 v78, v10, v36
	v_fma_f32 v30, v36, v11, -v37
	v_cvt_f64_f32_e32 v[4:5], v72
	v_cvt_f64_f32_e32 v[6:7], v25
	;; [unrolled: 4-line block ×4, first 2 shown]
	v_fmac_f32_e32 v81, v16, v42
	v_fma_f32 v40, v42, v17, -v43
	v_fmac_f32_e32 v82, v18, v44
	v_fma_f32 v44, v44, v19, -v45
	v_cvt_f64_f32_e32 v[16:17], v76
	v_cvt_f64_f32_e32 v[18:19], v28
	v_fmac_f32_e32 v83, v20, v46
	v_fma_f32 v48, v46, v21, -v47
	v_cvt_f64_f32_e32 v[20:21], v77
	v_cvt_f64_f32_e32 v[24:25], v29
	;; [unrolled: 1-line block ×14, first 2 shown]
	v_mul_f64 v[0:1], v[0:1], s[0:1]
	v_mul_f64 v[2:3], v[2:3], s[0:1]
	;; [unrolled: 1-line block ×24, first 2 shown]
	v_cvt_f32_f64_e32 v0, v[0:1]
	v_cvt_f32_f64_e32 v1, v[2:3]
	;; [unrolled: 1-line block ×24, first 2 shown]
	v_add_co_u32 v26, vcc_lo, v68, s4
	v_add_co_ci_u32_e32 v27, vcc_lo, s3, v69, vcc_lo
	v_add_co_u32 v28, vcc_lo, 0x800, v70
	v_add_co_ci_u32_e32 v29, vcc_lo, 0, v73, vcc_lo
	;; [unrolled: 2-line block ×3, first 2 shown]
	global_store_dwordx2 v[50:51], v[0:1], off
	global_store_dwordx2 v[52:53], v[2:3], off
	;; [unrolled: 1-line block ×12, first 2 shown]
	global_load_dwordx2 v[0:1], v[28:29], off offset:64
	s_waitcnt vmcnt(0)
	v_mul_f32_e32 v2, v23, v1
	v_mul_f32_e32 v1, v22, v1
	v_fmac_f32_e32 v2, v22, v0
	v_fma_f32 v3, v0, v23, -v1
	v_cvt_f64_f32_e32 v[0:1], v2
	v_cvt_f64_f32_e32 v[2:3], v3
	v_mul_f64 v[0:1], v[0:1], s[0:1]
	v_mul_f64 v[2:3], v[2:3], s[0:1]
	v_cvt_f32_f64_e32 v0, v[0:1]
	v_cvt_f32_f64_e32 v1, v[2:3]
	v_add_co_u32 v2, vcc_lo, v30, s4
	v_add_co_ci_u32_e32 v3, vcc_lo, s3, v31, vcc_lo
	global_store_dwordx2 v[2:3], v[0:1], off
.LBB0_23:
	s_endpgm
	.section	.rodata,"a",@progbits
	.p2align	6, 0x0
	.amdhsa_kernel bluestein_single_back_len286_dim1_sp_op_CI_CI
		.amdhsa_group_segment_fixed_size 4576
		.amdhsa_private_segment_fixed_size 0
		.amdhsa_kernarg_size 104
		.amdhsa_user_sgpr_count 6
		.amdhsa_user_sgpr_private_segment_buffer 1
		.amdhsa_user_sgpr_dispatch_ptr 0
		.amdhsa_user_sgpr_queue_ptr 0
		.amdhsa_user_sgpr_kernarg_segment_ptr 1
		.amdhsa_user_sgpr_dispatch_id 0
		.amdhsa_user_sgpr_flat_scratch_init 0
		.amdhsa_user_sgpr_private_segment_size 0
		.amdhsa_wavefront_size32 1
		.amdhsa_uses_dynamic_stack 0
		.amdhsa_system_sgpr_private_segment_wavefront_offset 0
		.amdhsa_system_sgpr_workgroup_id_x 1
		.amdhsa_system_sgpr_workgroup_id_y 0
		.amdhsa_system_sgpr_workgroup_id_z 0
		.amdhsa_system_sgpr_workgroup_info 0
		.amdhsa_system_vgpr_workitem_id 0
		.amdhsa_next_free_vgpr 166
		.amdhsa_next_free_sgpr 16
		.amdhsa_reserve_vcc 1
		.amdhsa_reserve_flat_scratch 0
		.amdhsa_float_round_mode_32 0
		.amdhsa_float_round_mode_16_64 0
		.amdhsa_float_denorm_mode_32 3
		.amdhsa_float_denorm_mode_16_64 3
		.amdhsa_dx10_clamp 1
		.amdhsa_ieee_mode 1
		.amdhsa_fp16_overflow 0
		.amdhsa_workgroup_processor_mode 1
		.amdhsa_memory_ordered 1
		.amdhsa_forward_progress 0
		.amdhsa_shared_vgpr_count 0
		.amdhsa_exception_fp_ieee_invalid_op 0
		.amdhsa_exception_fp_denorm_src 0
		.amdhsa_exception_fp_ieee_div_zero 0
		.amdhsa_exception_fp_ieee_overflow 0
		.amdhsa_exception_fp_ieee_underflow 0
		.amdhsa_exception_fp_ieee_inexact 0
		.amdhsa_exception_int_div_zero 0
	.end_amdhsa_kernel
	.text
.Lfunc_end0:
	.size	bluestein_single_back_len286_dim1_sp_op_CI_CI, .Lfunc_end0-bluestein_single_back_len286_dim1_sp_op_CI_CI
                                        ; -- End function
	.section	.AMDGPU.csdata,"",@progbits
; Kernel info:
; codeLenInByte = 14648
; NumSgprs: 18
; NumVgprs: 166
; ScratchSize: 0
; MemoryBound: 0
; FloatMode: 240
; IeeeMode: 1
; LDSByteSize: 4576 bytes/workgroup (compile time only)
; SGPRBlocks: 2
; VGPRBlocks: 20
; NumSGPRsForWavesPerEU: 18
; NumVGPRsForWavesPerEU: 166
; Occupancy: 5
; WaveLimiterHint : 1
; COMPUTE_PGM_RSRC2:SCRATCH_EN: 0
; COMPUTE_PGM_RSRC2:USER_SGPR: 6
; COMPUTE_PGM_RSRC2:TRAP_HANDLER: 0
; COMPUTE_PGM_RSRC2:TGID_X_EN: 1
; COMPUTE_PGM_RSRC2:TGID_Y_EN: 0
; COMPUTE_PGM_RSRC2:TGID_Z_EN: 0
; COMPUTE_PGM_RSRC2:TIDIG_COMP_CNT: 0
	.text
	.p2alignl 6, 3214868480
	.fill 48, 4, 3214868480
	.type	__hip_cuid_c24fd0b2024e3f81,@object ; @__hip_cuid_c24fd0b2024e3f81
	.section	.bss,"aw",@nobits
	.globl	__hip_cuid_c24fd0b2024e3f81
__hip_cuid_c24fd0b2024e3f81:
	.byte	0                               ; 0x0
	.size	__hip_cuid_c24fd0b2024e3f81, 1

	.ident	"AMD clang version 19.0.0git (https://github.com/RadeonOpenCompute/llvm-project roc-6.4.0 25133 c7fe45cf4b819c5991fe208aaa96edf142730f1d)"
	.section	".note.GNU-stack","",@progbits
	.addrsig
	.addrsig_sym __hip_cuid_c24fd0b2024e3f81
	.amdgpu_metadata
---
amdhsa.kernels:
  - .args:
      - .actual_access:  read_only
        .address_space:  global
        .offset:         0
        .size:           8
        .value_kind:     global_buffer
      - .actual_access:  read_only
        .address_space:  global
        .offset:         8
        .size:           8
        .value_kind:     global_buffer
      - .actual_access:  read_only
        .address_space:  global
        .offset:         16
        .size:           8
        .value_kind:     global_buffer
      - .actual_access:  read_only
        .address_space:  global
        .offset:         24
        .size:           8
        .value_kind:     global_buffer
      - .actual_access:  read_only
        .address_space:  global
        .offset:         32
        .size:           8
        .value_kind:     global_buffer
      - .offset:         40
        .size:           8
        .value_kind:     by_value
      - .address_space:  global
        .offset:         48
        .size:           8
        .value_kind:     global_buffer
      - .address_space:  global
        .offset:         56
        .size:           8
        .value_kind:     global_buffer
      - .address_space:  global
        .offset:         64
        .size:           8
        .value_kind:     global_buffer
      - .address_space:  global
        .offset:         72
        .size:           8
        .value_kind:     global_buffer
      - .offset:         80
        .size:           4
        .value_kind:     by_value
      - .address_space:  global
        .offset:         88
        .size:           8
        .value_kind:     global_buffer
      - .address_space:  global
        .offset:         96
        .size:           8
        .value_kind:     global_buffer
    .group_segment_fixed_size: 4576
    .kernarg_segment_align: 8
    .kernarg_segment_size: 104
    .language:       OpenCL C
    .language_version:
      - 2
      - 0
    .max_flat_workgroup_size: 52
    .name:           bluestein_single_back_len286_dim1_sp_op_CI_CI
    .private_segment_fixed_size: 0
    .sgpr_count:     18
    .sgpr_spill_count: 0
    .symbol:         bluestein_single_back_len286_dim1_sp_op_CI_CI.kd
    .uniform_work_group_size: 1
    .uses_dynamic_stack: false
    .vgpr_count:     166
    .vgpr_spill_count: 0
    .wavefront_size: 32
    .workgroup_processor_mode: 1
amdhsa.target:   amdgcn-amd-amdhsa--gfx1030
amdhsa.version:
  - 1
  - 2
...

	.end_amdgpu_metadata
